;; amdgpu-corpus repo=ROCm/rocFFT kind=compiled arch=gfx906 opt=O3
	.text
	.amdgcn_target "amdgcn-amd-amdhsa--gfx906"
	.amdhsa_code_object_version 6
	.protected	fft_rtc_back_len3600_factors_10_10_6_6_wgs_120_tpt_120_halfLds_sp_op_CI_CI_unitstride_sbrr_C2R_dirReg ; -- Begin function fft_rtc_back_len3600_factors_10_10_6_6_wgs_120_tpt_120_halfLds_sp_op_CI_CI_unitstride_sbrr_C2R_dirReg
	.globl	fft_rtc_back_len3600_factors_10_10_6_6_wgs_120_tpt_120_halfLds_sp_op_CI_CI_unitstride_sbrr_C2R_dirReg
	.p2align	8
	.type	fft_rtc_back_len3600_factors_10_10_6_6_wgs_120_tpt_120_halfLds_sp_op_CI_CI_unitstride_sbrr_C2R_dirReg,@function
fft_rtc_back_len3600_factors_10_10_6_6_wgs_120_tpt_120_halfLds_sp_op_CI_CI_unitstride_sbrr_C2R_dirReg: ; @fft_rtc_back_len3600_factors_10_10_6_6_wgs_120_tpt_120_halfLds_sp_op_CI_CI_unitstride_sbrr_C2R_dirReg
; %bb.0:
	s_load_dwordx4 s[8:11], s[4:5], 0x58
	s_load_dwordx4 s[12:15], s[4:5], 0x0
	;; [unrolled: 1-line block ×3, first 2 shown]
	v_mul_u32_u24_e32 v1, 0x223, v0
	v_add_u32_sdwa v5, s6, v1 dst_sel:DWORD dst_unused:UNUSED_PAD src0_sel:DWORD src1_sel:WORD_1
	v_mov_b32_e32 v3, 0
	s_waitcnt lgkmcnt(0)
	v_cmp_lt_u64_e64 s[0:1], s[14:15], 2
	v_mov_b32_e32 v1, 0
	v_mov_b32_e32 v6, v3
	s_and_b64 vcc, exec, s[0:1]
	v_mov_b32_e32 v2, 0
	s_cbranch_vccnz .LBB0_8
; %bb.1:
	s_load_dwordx2 s[0:1], s[4:5], 0x10
	s_add_u32 s2, s18, 8
	s_addc_u32 s3, s19, 0
	s_add_u32 s6, s16, 8
	v_mov_b32_e32 v1, 0
	s_addc_u32 s7, s17, 0
	v_mov_b32_e32 v2, 0
	s_waitcnt lgkmcnt(0)
	s_add_u32 s20, s0, 8
	v_mov_b32_e32 v61, v2
	s_addc_u32 s21, s1, 0
	s_mov_b64 s[22:23], 1
	v_mov_b32_e32 v60, v1
.LBB0_2:                                ; =>This Inner Loop Header: Depth=1
	s_load_dwordx2 s[24:25], s[20:21], 0x0
                                        ; implicit-def: $vgpr64_vgpr65
	s_waitcnt lgkmcnt(0)
	v_or_b32_e32 v4, s25, v6
	v_cmp_ne_u64_e32 vcc, 0, v[3:4]
	s_and_saveexec_b64 s[0:1], vcc
	s_xor_b64 s[26:27], exec, s[0:1]
	s_cbranch_execz .LBB0_4
; %bb.3:                                ;   in Loop: Header=BB0_2 Depth=1
	v_cvt_f32_u32_e32 v4, s24
	v_cvt_f32_u32_e32 v7, s25
	s_sub_u32 s0, 0, s24
	s_subb_u32 s1, 0, s25
	v_mac_f32_e32 v4, 0x4f800000, v7
	v_rcp_f32_e32 v4, v4
	v_mul_f32_e32 v4, 0x5f7ffffc, v4
	v_mul_f32_e32 v7, 0x2f800000, v4
	v_trunc_f32_e32 v7, v7
	v_mac_f32_e32 v4, 0xcf800000, v7
	v_cvt_u32_f32_e32 v7, v7
	v_cvt_u32_f32_e32 v4, v4
	v_mul_lo_u32 v8, s0, v7
	v_mul_hi_u32 v9, s0, v4
	v_mul_lo_u32 v11, s1, v4
	v_mul_lo_u32 v10, s0, v4
	v_add_u32_e32 v8, v9, v8
	v_add_u32_e32 v8, v8, v11
	v_mul_hi_u32 v9, v4, v10
	v_mul_lo_u32 v11, v4, v8
	v_mul_hi_u32 v13, v4, v8
	v_mul_hi_u32 v12, v7, v10
	v_mul_lo_u32 v10, v7, v10
	v_mul_hi_u32 v14, v7, v8
	v_add_co_u32_e32 v9, vcc, v9, v11
	v_addc_co_u32_e32 v11, vcc, 0, v13, vcc
	v_mul_lo_u32 v8, v7, v8
	v_add_co_u32_e32 v9, vcc, v9, v10
	v_addc_co_u32_e32 v9, vcc, v11, v12, vcc
	v_addc_co_u32_e32 v10, vcc, 0, v14, vcc
	v_add_co_u32_e32 v8, vcc, v9, v8
	v_addc_co_u32_e32 v9, vcc, 0, v10, vcc
	v_add_co_u32_e32 v4, vcc, v4, v8
	v_addc_co_u32_e32 v7, vcc, v7, v9, vcc
	v_mul_lo_u32 v8, s0, v7
	v_mul_hi_u32 v9, s0, v4
	v_mul_lo_u32 v10, s1, v4
	v_mul_lo_u32 v11, s0, v4
	v_add_u32_e32 v8, v9, v8
	v_add_u32_e32 v8, v8, v10
	v_mul_lo_u32 v12, v4, v8
	v_mul_hi_u32 v13, v4, v11
	v_mul_hi_u32 v14, v4, v8
	v_mul_hi_u32 v10, v7, v11
	v_mul_lo_u32 v11, v7, v11
	v_mul_hi_u32 v9, v7, v8
	v_add_co_u32_e32 v12, vcc, v13, v12
	v_addc_co_u32_e32 v13, vcc, 0, v14, vcc
	v_mul_lo_u32 v8, v7, v8
	v_add_co_u32_e32 v11, vcc, v12, v11
	v_addc_co_u32_e32 v10, vcc, v13, v10, vcc
	v_addc_co_u32_e32 v9, vcc, 0, v9, vcc
	v_add_co_u32_e32 v8, vcc, v10, v8
	v_addc_co_u32_e32 v9, vcc, 0, v9, vcc
	v_add_co_u32_e32 v4, vcc, v4, v8
	v_addc_co_u32_e32 v9, vcc, v7, v9, vcc
	v_mad_u64_u32 v[7:8], s[0:1], v5, v9, 0
	v_mul_hi_u32 v10, v5, v4
	v_add_co_u32_e32 v11, vcc, v10, v7
	v_addc_co_u32_e32 v12, vcc, 0, v8, vcc
	v_mad_u64_u32 v[7:8], s[0:1], v6, v4, 0
	v_mad_u64_u32 v[9:10], s[0:1], v6, v9, 0
	v_add_co_u32_e32 v4, vcc, v11, v7
	v_addc_co_u32_e32 v4, vcc, v12, v8, vcc
	v_addc_co_u32_e32 v7, vcc, 0, v10, vcc
	v_add_co_u32_e32 v4, vcc, v4, v9
	v_addc_co_u32_e32 v9, vcc, 0, v7, vcc
	v_mul_lo_u32 v10, s25, v4
	v_mul_lo_u32 v11, s24, v9
	v_mad_u64_u32 v[7:8], s[0:1], s24, v4, 0
	v_add3_u32 v8, v8, v11, v10
	v_sub_u32_e32 v10, v6, v8
	v_mov_b32_e32 v11, s25
	v_sub_co_u32_e32 v7, vcc, v5, v7
	v_subb_co_u32_e64 v10, s[0:1], v10, v11, vcc
	v_subrev_co_u32_e64 v11, s[0:1], s24, v7
	v_subbrev_co_u32_e64 v10, s[0:1], 0, v10, s[0:1]
	v_cmp_le_u32_e64 s[0:1], s25, v10
	v_cndmask_b32_e64 v12, 0, -1, s[0:1]
	v_cmp_le_u32_e64 s[0:1], s24, v11
	v_cndmask_b32_e64 v11, 0, -1, s[0:1]
	v_cmp_eq_u32_e64 s[0:1], s25, v10
	v_cndmask_b32_e64 v10, v12, v11, s[0:1]
	v_add_co_u32_e64 v11, s[0:1], 2, v4
	v_addc_co_u32_e64 v12, s[0:1], 0, v9, s[0:1]
	v_add_co_u32_e64 v13, s[0:1], 1, v4
	v_addc_co_u32_e64 v14, s[0:1], 0, v9, s[0:1]
	v_subb_co_u32_e32 v8, vcc, v6, v8, vcc
	v_cmp_ne_u32_e64 s[0:1], 0, v10
	v_cmp_le_u32_e32 vcc, s25, v8
	v_cndmask_b32_e64 v10, v14, v12, s[0:1]
	v_cndmask_b32_e64 v12, 0, -1, vcc
	v_cmp_le_u32_e32 vcc, s24, v7
	v_cndmask_b32_e64 v7, 0, -1, vcc
	v_cmp_eq_u32_e32 vcc, s25, v8
	v_cndmask_b32_e32 v7, v12, v7, vcc
	v_cmp_ne_u32_e32 vcc, 0, v7
	v_cndmask_b32_e64 v7, v13, v11, s[0:1]
	v_cndmask_b32_e32 v65, v9, v10, vcc
	v_cndmask_b32_e32 v64, v4, v7, vcc
.LBB0_4:                                ;   in Loop: Header=BB0_2 Depth=1
	s_andn2_saveexec_b64 s[0:1], s[26:27]
	s_cbranch_execz .LBB0_6
; %bb.5:                                ;   in Loop: Header=BB0_2 Depth=1
	v_cvt_f32_u32_e32 v4, s24
	s_sub_i32 s26, 0, s24
	v_mov_b32_e32 v65, v3
	v_rcp_iflag_f32_e32 v4, v4
	v_mul_f32_e32 v4, 0x4f7ffffe, v4
	v_cvt_u32_f32_e32 v4, v4
	v_mul_lo_u32 v7, s26, v4
	v_mul_hi_u32 v7, v4, v7
	v_add_u32_e32 v4, v4, v7
	v_mul_hi_u32 v4, v5, v4
	v_mul_lo_u32 v7, v4, s24
	v_add_u32_e32 v8, 1, v4
	v_sub_u32_e32 v7, v5, v7
	v_subrev_u32_e32 v9, s24, v7
	v_cmp_le_u32_e32 vcc, s24, v7
	v_cndmask_b32_e32 v7, v7, v9, vcc
	v_cndmask_b32_e32 v4, v4, v8, vcc
	v_add_u32_e32 v8, 1, v4
	v_cmp_le_u32_e32 vcc, s24, v7
	v_cndmask_b32_e32 v64, v4, v8, vcc
.LBB0_6:                                ;   in Loop: Header=BB0_2 Depth=1
	s_or_b64 exec, exec, s[0:1]
	v_mul_lo_u32 v4, v65, s24
	v_mul_lo_u32 v9, v64, s25
	v_mad_u64_u32 v[7:8], s[0:1], v64, s24, 0
	s_load_dwordx2 s[0:1], s[6:7], 0x0
	s_load_dwordx2 s[24:25], s[2:3], 0x0
	v_add3_u32 v4, v8, v9, v4
	v_sub_co_u32_e32 v5, vcc, v5, v7
	v_subb_co_u32_e32 v4, vcc, v6, v4, vcc
	s_waitcnt lgkmcnt(0)
	v_mul_lo_u32 v6, s0, v4
	v_mul_lo_u32 v7, s1, v5
	v_mad_u64_u32 v[1:2], s[0:1], s0, v5, v[1:2]
	v_mul_lo_u32 v4, s24, v4
	v_mul_lo_u32 v8, s25, v5
	v_mad_u64_u32 v[60:61], s[0:1], s24, v5, v[60:61]
	s_add_u32 s22, s22, 1
	s_addc_u32 s23, s23, 0
	s_add_u32 s2, s2, 8
	v_add3_u32 v61, v8, v61, v4
	s_addc_u32 s3, s3, 0
	v_mov_b32_e32 v4, s14
	s_add_u32 s6, s6, 8
	v_mov_b32_e32 v5, s15
	s_addc_u32 s7, s7, 0
	v_cmp_ge_u64_e32 vcc, s[22:23], v[4:5]
	s_add_u32 s20, s20, 8
	v_add3_u32 v2, v7, v2, v6
	s_addc_u32 s21, s21, 0
	s_cbranch_vccnz .LBB0_9
; %bb.7:                                ;   in Loop: Header=BB0_2 Depth=1
	v_mov_b32_e32 v5, v64
	v_mov_b32_e32 v6, v65
	s_branch .LBB0_2
.LBB0_8:
	v_mov_b32_e32 v61, v2
	v_mov_b32_e32 v65, v6
	;; [unrolled: 1-line block ×4, first 2 shown]
.LBB0_9:
	s_load_dwordx2 s[4:5], s[4:5], 0x28
	s_lshl_b64 s[6:7], s[14:15], 3
	s_add_u32 s2, s18, s6
	s_addc_u32 s3, s19, s7
                                        ; implicit-def: $vgpr62
	s_waitcnt lgkmcnt(0)
	v_cmp_gt_u64_e64 s[0:1], s[4:5], v[64:65]
	v_cmp_le_u64_e32 vcc, s[4:5], v[64:65]
	s_and_saveexec_b64 s[4:5], vcc
	s_xor_b64 s[4:5], exec, s[4:5]
; %bb.10:
	s_mov_b32 s14, 0x2222223
	v_mul_hi_u32 v1, v0, s14
	v_mul_u32_u24_e32 v1, 0x78, v1
	v_sub_u32_e32 v62, v0, v1
                                        ; implicit-def: $vgpr0
                                        ; implicit-def: $vgpr1_vgpr2
; %bb.11:
	s_or_saveexec_b64 s[4:5], s[4:5]
	s_load_dwordx2 s[2:3], s[2:3], 0x0
	s_xor_b64 exec, exec, s[4:5]
	s_cbranch_execz .LBB0_15
; %bb.12:
	s_add_u32 s6, s16, s6
	s_addc_u32 s7, s17, s7
	s_load_dwordx2 s[6:7], s[6:7], 0x0
	s_mov_b32 s14, 0x2222223
	v_mul_hi_u32 v5, v0, s14
	v_lshlrev_b64 v[1:2], 3, v[1:2]
	s_waitcnt lgkmcnt(0)
	v_mul_lo_u32 v6, s7, v64
	v_mul_lo_u32 v7, s6, v65
	v_mad_u64_u32 v[3:4], s[6:7], s6, v64, 0
	v_mul_u32_u24_e32 v5, 0x78, v5
	v_sub_u32_e32 v62, v0, v5
	v_add3_u32 v4, v4, v7, v6
	v_lshlrev_b64 v[3:4], 3, v[3:4]
	v_mov_b32_e32 v0, s9
	v_add_co_u32_e32 v3, vcc, s8, v3
	v_addc_co_u32_e32 v0, vcc, v0, v4, vcc
	v_add_co_u32_e32 v1, vcc, v3, v1
	v_addc_co_u32_e32 v0, vcc, v0, v2, vcc
	v_lshlrev_b32_e32 v63, 3, v62
	v_add_co_u32_e32 v2, vcc, v1, v63
	v_addc_co_u32_e32 v3, vcc, 0, v0, vcc
	s_movk_i32 s6, 0x1000
	v_add_co_u32_e32 v6, vcc, s6, v2
	v_addc_co_u32_e32 v7, vcc, 0, v3, vcc
	s_movk_i32 s6, 0x2000
	;; [unrolled: 3-line block ×3, first 2 shown]
	global_load_dwordx2 v[4:5], v[2:3], off offset:2880
	global_load_dwordx2 v[8:9], v[2:3], off offset:3840
	;; [unrolled: 1-line block ×9, first 2 shown]
	v_add_co_u32_e32 v6, vcc, s6, v2
	v_addc_co_u32_e32 v7, vcc, 0, v3, vcc
	v_or_b32_e32 v32, 0x3c00, v63
	global_load_dwordx2 v[26:27], v[2:3], off
	global_load_dwordx2 v[28:29], v[2:3], off offset:1920
	global_load_dwordx2 v[30:31], v[2:3], off offset:960
	v_add_co_u32_e32 v32, vcc, v1, v32
	s_movk_i32 s6, 0x4000
	v_addc_co_u32_e32 v33, vcc, 0, v0, vcc
	v_add_co_u32_e32 v34, vcc, s6, v2
	v_addc_co_u32_e32 v35, vcc, 0, v3, vcc
	global_load_dwordx2 v[36:37], v[16:17], off offset:3328
	global_load_dwordx2 v[38:39], v[6:7], off offset:192
	;; [unrolled: 1-line block ×6, first 2 shown]
	global_load_dwordx2 v[48:49], v[32:33], off
	global_load_dwordx2 v[50:51], v[6:7], off offset:4032
	s_movk_i32 s6, 0x5000
	v_add_co_u32_e32 v6, vcc, s6, v2
	v_addc_co_u32_e32 v7, vcc, 0, v3, vcc
	global_load_dwordx2 v[16:17], v[34:35], off offset:2816
	global_load_dwordx2 v[32:33], v[34:35], off offset:3776
	;; [unrolled: 1-line block ×4, first 2 shown]
	v_add_co_u32_e32 v2, vcc, 0x6000, v2
	v_addc_co_u32_e32 v3, vcc, 0, v3, vcc
	global_load_dwordx2 v[34:35], v[6:7], off offset:2560
	global_load_dwordx2 v[56:57], v[6:7], off offset:3520
	;; [unrolled: 1-line block ×6, first 2 shown]
	v_add_u32_e32 v2, 0, v63
	v_add_u32_e32 v3, 0x400, v2
	;; [unrolled: 1-line block ×3, first 2 shown]
	s_movk_i32 s6, 0x77
	v_cmp_eq_u32_e32 vcc, s6, v62
	s_waitcnt vmcnt(19)
	ds_write2_b64 v3, v[28:29], v[4:5] offset0:112 offset1:232
	v_add_u32_e32 v3, 0x1400, v2
	ds_write2_b64 v6, v[8:9], v[10:11] offset0:96 offset1:216
	ds_write2_b64 v3, v[12:13], v[14:15] offset0:80 offset1:200
	v_add_u32_e32 v3, 0x1c00, v2
	ds_write2_b64 v3, v[18:19], v[20:21] offset0:64 offset1:184
	v_add_u32_e32 v3, 0x2400, v2
	v_add_u32_e32 v4, 0x2c00, v2
	ds_write2_b64 v3, v[22:23], v[24:25] offset0:48 offset1:168
	s_waitcnt vmcnt(16)
	ds_write2_b64 v4, v[36:37], v[38:39] offset0:32 offset1:152
	v_add_u32_e32 v3, 0x3400, v2
	ds_write2_b64 v2, v[26:27], v[30:31] offset1:120
	v_add_u32_e32 v4, 0x3800, v2
	v_add_u32_e32 v5, 0x4000, v2
	s_waitcnt vmcnt(14)
	ds_write2_b64 v3, v[40:41], v[42:43] offset0:16 offset1:136
	s_waitcnt vmcnt(10)
	ds_write2_b64 v4, v[48:49], v[50:51] offset0:128 offset1:248
	ds_write2_b64 v5, v[46:47], v[44:45] offset0:112 offset1:232
	v_add_u32_e32 v3, 0x4800, v2
	s_waitcnt vmcnt(8)
	ds_write2_b64 v3, v[16:17], v[32:33] offset0:96 offset1:216
	v_add_u32_e32 v3, 0x5000, v2
	s_waitcnt vmcnt(6)
	;; [unrolled: 3-line block ×3, first 2 shown]
	ds_write2_b64 v3, v[34:35], v[56:57] offset0:64 offset1:184
	v_add_u32_e32 v3, 0x6000, v2
	v_add_u32_e32 v2, 0x6800, v2
	s_waitcnt vmcnt(2)
	ds_write2_b64 v3, v[58:59], v[66:67] offset0:48 offset1:168
	s_waitcnt vmcnt(0)
	ds_write2_b64 v2, v[68:69], v[70:71] offset0:32 offset1:152
	s_and_saveexec_b64 s[6:7], vcc
	s_cbranch_execz .LBB0_14
; %bb.13:
	v_add_co_u32_e32 v1, vcc, 0x7000, v1
	v_addc_co_u32_e32 v2, vcc, 0, v0, vcc
	global_load_dwordx2 v[0:1], v[1:2], off offset:128
	v_mov_b32_e32 v2, 0
	v_mov_b32_e32 v62, 0x77
	s_waitcnt vmcnt(0)
	ds_write_b64 v2, v[0:1] offset:28800
.LBB0_14:
	s_or_b64 exec, exec, s[6:7]
.LBB0_15:
	s_or_b64 exec, exec, s[4:5]
	v_lshlrev_b32_e32 v0, 3, v62
	v_add_u32_e32 v66, 0, v0
	s_waitcnt lgkmcnt(0)
	s_barrier
	v_sub_u32_e32 v4, 0, v0
	ds_read_b32 v5, v66
	ds_read_b32 v6, v4 offset:28800
	s_add_u32 s6, s12, 0x7030
	s_addc_u32 s7, s13, 0
	v_cmp_ne_u32_e32 vcc, 0, v62
                                        ; implicit-def: $vgpr2_vgpr3
	s_waitcnt lgkmcnt(0)
	v_add_f32_e32 v0, v6, v5
	v_sub_f32_e32 v1, v5, v6
	s_and_saveexec_b64 s[4:5], vcc
	s_xor_b64 s[4:5], exec, s[4:5]
	s_cbranch_execz .LBB0_17
; %bb.16:
	v_mov_b32_e32 v63, 0
	v_lshlrev_b64 v[0:1], 3, v[62:63]
	v_mov_b32_e32 v2, s7
	v_add_co_u32_e32 v0, vcc, s6, v0
	v_addc_co_u32_e32 v1, vcc, v2, v1, vcc
	global_load_dwordx2 v[2:3], v[0:1], off
	ds_read_b32 v0, v4 offset:28804
	ds_read_b32 v1, v66 offset:4
	v_add_f32_e32 v7, v6, v5
	v_sub_f32_e32 v8, v5, v6
	s_waitcnt lgkmcnt(0)
	v_add_f32_e32 v9, v0, v1
	v_sub_f32_e32 v0, v1, v0
	s_waitcnt vmcnt(0)
	v_fma_f32 v10, v8, v3, v7
	v_fma_f32 v1, v9, v3, v0
	v_fma_f32 v5, -v8, v3, v7
	v_fma_f32 v6, v9, v3, -v0
	v_fma_f32 v0, -v2, v9, v10
	v_fmac_f32_e32 v1, v8, v2
	v_fmac_f32_e32 v5, v2, v9
	;; [unrolled: 1-line block ×3, first 2 shown]
	v_mov_b32_e32 v2, v62
	ds_write_b64 v4, v[5:6] offset:28800
	v_mov_b32_e32 v3, v63
.LBB0_17:
	s_andn2_saveexec_b64 s[4:5], s[4:5]
	s_cbranch_execz .LBB0_19
; %bb.18:
	v_mov_b32_e32 v7, 0
	ds_read_b64 v[2:3], v7 offset:14400
	s_waitcnt lgkmcnt(0)
	v_add_f32_e32 v5, v2, v2
	v_mul_f32_e32 v6, -2.0, v3
	v_mov_b32_e32 v2, 0
	v_mov_b32_e32 v3, 0
	ds_write_b64 v7, v[5:6] offset:14400
.LBB0_19:
	s_or_b64 exec, exec, s[4:5]
	v_lshlrev_b64 v[2:3], 3, v[2:3]
	v_mov_b32_e32 v5, s7
	v_add_co_u32_e32 v2, vcc, s6, v2
	v_addc_co_u32_e32 v3, vcc, v5, v3, vcc
	global_load_dwordx2 v[5:6], v[2:3], off offset:960
	global_load_dwordx2 v[7:8], v[2:3], off offset:1920
	;; [unrolled: 1-line block ×4, first 2 shown]
	s_movk_i32 s4, 0x1000
	v_add_co_u32_e32 v15, vcc, s4, v2
	ds_write_b64 v66, v[0:1]
	v_addc_co_u32_e32 v16, vcc, 0, v3, vcc
	ds_read_b64 v[0:1], v66 offset:960
	ds_read_b64 v[13:14], v4 offset:27840
	global_load_dwordx2 v[17:18], v[15:16], off offset:704
	s_movk_i32 s5, 0x2000
	s_movk_i32 s6, 0x3000
	v_add_u32_e32 v69, 0x1400, v66
	s_waitcnt lgkmcnt(0)
	v_add_f32_e32 v19, v0, v13
	v_add_f32_e32 v20, v14, v1
	v_sub_f32_e32 v21, v0, v13
	v_sub_f32_e32 v0, v1, v14
	v_add_u32_e32 v68, 0x2c00, v66
	v_add_u32_e32 v63, 0x4000, v66
	;; [unrolled: 1-line block ×8, first 2 shown]
	v_mul_u32_u24_e32 v108, 10, v62
	v_lshl_add_u32 v108, v108, 3, 0
	v_add_u32_e32 v77, 0x400, v66
	v_add_u32_e32 v76, 0x1c00, v66
	v_add_u32_e32 v75, 0x3400, v66
	v_add_u32_e32 v79, 0x4800, v66
	v_add_u32_e32 v78, 0x6000, v66
	v_add_u32_e32 v109, 0x2580, v108
	s_movk_i32 s7, 0xcd
	s_mov_b32 s8, 0xcccd
	s_waitcnt vmcnt(4)
	v_fma_f32 v22, v21, v6, v19
	v_fma_f32 v1, v20, v6, v0
	v_fma_f32 v13, -v21, v6, v19
	v_fma_f32 v14, v20, v6, -v0
	v_fma_f32 v0, -v5, v20, v22
	v_fmac_f32_e32 v1, v21, v5
	v_fmac_f32_e32 v13, v5, v20
	v_fmac_f32_e32 v14, v21, v5
	ds_write_b64 v66, v[0:1] offset:960
	ds_write_b64 v4, v[13:14] offset:27840
	ds_read_b64 v[0:1], v66 offset:1920
	ds_read_b64 v[5:6], v4 offset:26880
	global_load_dwordx2 v[13:14], v[15:16], off offset:1664
	s_waitcnt lgkmcnt(0)
	v_add_f32_e32 v19, v0, v5
	v_add_f32_e32 v20, v6, v1
	v_sub_f32_e32 v21, v0, v5
	v_sub_f32_e32 v0, v1, v6
	s_waitcnt vmcnt(4)
	v_fma_f32 v22, v21, v8, v19
	v_fma_f32 v1, v20, v8, v0
	v_fma_f32 v5, -v21, v8, v19
	v_fma_f32 v6, v20, v8, -v0
	v_fma_f32 v0, -v7, v20, v22
	v_fmac_f32_e32 v1, v21, v7
	v_fmac_f32_e32 v5, v7, v20
	v_fmac_f32_e32 v6, v21, v7
	ds_write_b64 v66, v[0:1] offset:1920
	ds_write_b64 v4, v[5:6] offset:26880
	ds_read_b64 v[0:1], v66 offset:2880
	ds_read_b64 v[5:6], v4 offset:25920
	global_load_dwordx2 v[7:8], v[15:16], off offset:2624
	s_waitcnt lgkmcnt(0)
	v_add_f32_e32 v19, v0, v5
	v_add_f32_e32 v20, v6, v1
	v_sub_f32_e32 v21, v0, v5
	v_sub_f32_e32 v0, v1, v6
	;; [unrolled: 19-line block ×3, first 2 shown]
	s_waitcnt vmcnt(4)
	v_fma_f32 v20, v19, v12, v15
	v_fma_f32 v1, v16, v12, v0
	v_fma_f32 v5, -v19, v12, v15
	v_fma_f32 v6, v16, v12, -v0
	v_fma_f32 v0, -v11, v16, v20
	v_fmac_f32_e32 v1, v19, v11
	v_fmac_f32_e32 v5, v11, v16
	;; [unrolled: 1-line block ×3, first 2 shown]
	v_add_co_u32_e32 v11, vcc, s5, v2
	ds_write_b64 v66, v[0:1] offset:3840
	ds_write_b64 v4, v[5:6] offset:24960
	v_addc_co_u32_e32 v12, vcc, 0, v3, vcc
	ds_read_b64 v[0:1], v66 offset:4800
	ds_read_b64 v[5:6], v4 offset:24000
	global_load_dwordx2 v[15:16], v[11:12], off offset:448
	v_add_co_u32_e32 v2, vcc, s6, v2
	v_addc_co_u32_e32 v3, vcc, 0, v3, vcc
	s_waitcnt lgkmcnt(0)
	v_add_f32_e32 v19, v0, v5
	v_add_f32_e32 v20, v6, v1
	v_sub_f32_e32 v21, v0, v5
	v_sub_f32_e32 v0, v1, v6
	s_waitcnt vmcnt(4)
	v_fma_f32 v22, v21, v18, v19
	v_fma_f32 v1, v20, v18, v0
	v_fma_f32 v5, -v21, v18, v19
	v_fma_f32 v6, v20, v18, -v0
	v_fma_f32 v0, -v17, v20, v22
	v_fmac_f32_e32 v1, v21, v17
	v_fmac_f32_e32 v5, v17, v20
	;; [unrolled: 1-line block ×3, first 2 shown]
	ds_write_b64 v66, v[0:1] offset:4800
	ds_write_b64 v4, v[5:6] offset:24000
	ds_read_b64 v[0:1], v66 offset:5760
	ds_read_b64 v[5:6], v4 offset:23040
	global_load_dwordx2 v[17:18], v[11:12], off offset:1408
	s_waitcnt lgkmcnt(0)
	v_add_f32_e32 v19, v0, v5
	v_add_f32_e32 v20, v6, v1
	v_sub_f32_e32 v21, v0, v5
	v_sub_f32_e32 v0, v1, v6
	s_waitcnt vmcnt(4)
	v_fma_f32 v22, v21, v14, v19
	v_fma_f32 v1, v20, v14, v0
	v_fma_f32 v5, -v21, v14, v19
	v_fma_f32 v6, v20, v14, -v0
	v_fma_f32 v0, -v13, v20, v22
	v_fmac_f32_e32 v1, v21, v13
	v_fmac_f32_e32 v5, v13, v20
	;; [unrolled: 1-line block ×3, first 2 shown]
	ds_write_b64 v66, v[0:1] offset:5760
	ds_write_b64 v4, v[5:6] offset:23040
	ds_read_b64 v[0:1], v66 offset:6720
	ds_read_b64 v[5:6], v4 offset:22080
	global_load_dwordx2 v[13:14], v[11:12], off offset:2368
	s_waitcnt lgkmcnt(0)
	v_add_f32_e32 v19, v0, v5
	v_add_f32_e32 v20, v6, v1
	v_sub_f32_e32 v21, v0, v5
	v_sub_f32_e32 v0, v1, v6
	s_waitcnt vmcnt(4)
	v_fma_f32 v22, v21, v8, v19
	v_fma_f32 v1, v20, v8, v0
	v_fma_f32 v5, -v21, v8, v19
	v_fma_f32 v6, v20, v8, -v0
	v_fma_f32 v0, -v7, v20, v22
	v_fmac_f32_e32 v1, v21, v7
	v_fmac_f32_e32 v5, v7, v20
	;; [unrolled: 1-line block ×3, first 2 shown]
	ds_write_b64 v66, v[0:1] offset:6720
	ds_write_b64 v4, v[5:6] offset:22080
	ds_read_b64 v[0:1], v66 offset:7680
	ds_read_b64 v[5:6], v4 offset:21120
	s_waitcnt lgkmcnt(0)
	v_add_f32_e32 v7, v0, v5
	v_add_f32_e32 v8, v6, v1
	v_sub_f32_e32 v19, v0, v5
	v_sub_f32_e32 v5, v1, v6
	s_waitcnt vmcnt(3)
	v_fma_f32 v0, v19, v10, v7
	v_fma_f32 v1, v8, v10, v5
	v_fma_f32 v0, -v9, v8, v0
	v_fmac_f32_e32 v1, v19, v9
	ds_write_b64 v66, v[0:1] offset:7680
	v_fma_f32 v1, v8, v10, -v5
	global_load_dwordx2 v[5:6], v[11:12], off offset:3328
	v_fma_f32 v0, -v19, v10, v7
	v_fmac_f32_e32 v0, v9, v8
	v_fmac_f32_e32 v1, v19, v9
	ds_write_b64 v4, v[0:1] offset:21120
	ds_read_b64 v[0:1], v66 offset:8640
	ds_read_b64 v[7:8], v4 offset:20160
	s_waitcnt lgkmcnt(0)
	v_add_f32_e32 v9, v0, v7
	v_add_f32_e32 v10, v8, v1
	v_sub_f32_e32 v11, v0, v7
	v_sub_f32_e32 v12, v1, v8
	global_load_dwordx2 v[7:8], v[2:3], off offset:192
	s_waitcnt vmcnt(4)
	v_fma_f32 v0, v11, v16, v9
	v_fma_f32 v1, v10, v16, v12
	v_fma_f32 v0, -v15, v10, v0
	v_fmac_f32_e32 v1, v11, v15
	ds_write_b64 v66, v[0:1] offset:8640
	v_fma_f32 v0, -v11, v16, v9
	v_fma_f32 v1, v10, v16, -v12
	v_fmac_f32_e32 v0, v15, v10
	v_fmac_f32_e32 v1, v11, v15
	ds_write_b64 v4, v[0:1] offset:20160
	ds_read_b64 v[0:1], v66 offset:9600
	ds_read_b64 v[9:10], v4 offset:19200
	s_waitcnt lgkmcnt(0)
	v_add_f32_e32 v11, v0, v9
	v_add_f32_e32 v12, v10, v1
	v_sub_f32_e32 v9, v0, v9
	v_sub_f32_e32 v10, v1, v10
	global_load_dwordx2 v[0:1], v[2:3], off offset:1152
	s_waitcnt vmcnt(4)
	v_fma_f32 v15, v9, v18, v11
	v_fma_f32 v3, v12, v18, v10
	v_fma_f32 v2, -v17, v12, v15
	v_fmac_f32_e32 v3, v9, v17
	ds_write_b64 v66, v[2:3] offset:9600
	v_fma_f32 v2, -v9, v18, v11
	v_fma_f32 v3, v12, v18, -v10
	v_fmac_f32_e32 v2, v17, v12
	v_fmac_f32_e32 v3, v9, v17
	ds_write_b64 v4, v[2:3] offset:19200
	ds_read_b64 v[2:3], v66 offset:10560
	ds_read_b64 v[9:10], v4 offset:18240
	s_waitcnt lgkmcnt(0)
	v_add_f32_e32 v11, v2, v9
	v_add_f32_e32 v12, v10, v3
	v_sub_f32_e32 v9, v2, v9
	v_sub_f32_e32 v10, v3, v10
	s_waitcnt vmcnt(3)
	v_fma_f32 v2, v9, v14, v11
	v_fma_f32 v3, v12, v14, v10
	v_fma_f32 v2, -v13, v12, v2
	v_fmac_f32_e32 v3, v9, v13
	ds_write_b64 v66, v[2:3] offset:10560
	v_fma_f32 v2, -v9, v14, v11
	v_fma_f32 v3, v12, v14, -v10
	v_fmac_f32_e32 v2, v13, v12
	v_fmac_f32_e32 v3, v9, v13
	ds_write_b64 v4, v[2:3] offset:18240
	ds_read_b64 v[2:3], v66 offset:11520
	ds_read_b64 v[9:10], v4 offset:17280
	s_waitcnt lgkmcnt(0)
	v_add_f32_e32 v11, v2, v9
	v_add_f32_e32 v12, v10, v3
	v_sub_f32_e32 v9, v2, v9
	v_sub_f32_e32 v10, v3, v10
	s_waitcnt vmcnt(2)
	v_fma_f32 v2, v9, v6, v11
	v_fma_f32 v3, v12, v6, v10
	v_fma_f32 v2, -v5, v12, v2
	v_fmac_f32_e32 v3, v9, v5
	ds_write_b64 v66, v[2:3] offset:11520
	v_fma_f32 v2, -v9, v6, v11
	v_fma_f32 v3, v12, v6, -v10
	v_fmac_f32_e32 v2, v5, v12
	v_fmac_f32_e32 v3, v9, v5
	ds_write_b64 v4, v[2:3] offset:17280
	ds_read_b64 v[2:3], v66 offset:12480
	ds_read_b64 v[5:6], v4 offset:16320
	s_waitcnt lgkmcnt(0)
	v_add_f32_e32 v9, v2, v5
	v_add_f32_e32 v10, v6, v3
	v_sub_f32_e32 v5, v2, v5
	v_sub_f32_e32 v6, v3, v6
	s_waitcnt vmcnt(1)
	v_fma_f32 v2, v5, v8, v9
	v_fma_f32 v3, v10, v8, v6
	v_fma_f32 v2, -v7, v10, v2
	v_fmac_f32_e32 v3, v5, v7
	ds_write_b64 v66, v[2:3] offset:12480
	v_fma_f32 v2, -v5, v8, v9
	v_fma_f32 v3, v10, v8, -v6
	v_fmac_f32_e32 v2, v7, v10
	v_fmac_f32_e32 v3, v5, v7
	ds_write_b64 v4, v[2:3] offset:16320
	ds_read_b64 v[2:3], v66 offset:13440
	ds_read_b64 v[5:6], v4 offset:15360
	s_waitcnt lgkmcnt(0)
	v_add_f32_e32 v7, v2, v5
	v_add_f32_e32 v8, v6, v3
	v_sub_f32_e32 v5, v2, v5
	v_sub_f32_e32 v6, v3, v6
	s_waitcnt vmcnt(0)
	v_fma_f32 v2, v5, v1, v7
	v_fma_f32 v3, v8, v1, v6
	v_fma_f32 v2, -v0, v8, v2
	v_fmac_f32_e32 v3, v5, v0
	ds_write_b64 v66, v[2:3] offset:13440
	v_fma_f32 v2, -v5, v1, v7
	v_fma_f32 v3, v8, v1, -v6
	v_fmac_f32_e32 v2, v0, v8
	v_fmac_f32_e32 v3, v5, v0
	ds_write_b64 v4, v[2:3] offset:15360
	s_waitcnt lgkmcnt(0)
	s_barrier
	s_barrier
	ds_read2_b64 v[0:3], v69 offset0:80 offset1:200
	ds_read2_b64 v[8:11], v68 offset0:32 offset1:152
	;; [unrolled: 1-line block ×9, first 2 shown]
	s_waitcnt lgkmcnt(7)
	v_sub_f32_e32 v16, v2, v10
	ds_read2_b64 v[20:23], v66 offset1:120
	s_waitcnt lgkmcnt(6)
	v_sub_f32_e32 v17, v14, v6
	v_add_f32_e32 v80, v16, v17
	v_sub_f32_e32 v16, v3, v11
	v_sub_f32_e32 v17, v15, v7
	v_add_f32_e32 v85, v16, v17
	s_waitcnt lgkmcnt(4)
	v_sub_f32_e32 v16, v24, v32
	s_waitcnt lgkmcnt(2)
	v_sub_f32_e32 v17, v52, v56
	v_add_f32_e32 v86, v16, v17
	v_sub_f32_e32 v16, v25, v33
	v_sub_f32_e32 v17, v53, v57
	v_add_f32_e32 v87, v16, v17
	v_add_f32_e32 v17, v33, v57
	;; [unrolled: 1-line block ×3, first 2 shown]
	s_waitcnt lgkmcnt(1)
	v_fma_f32 v91, -0.5, v17, v49
	v_fma_f32 v88, -0.5, v16, v48
	v_sub_f32_e32 v92, v24, v52
	v_mov_b32_e32 v17, v91
	v_sub_f32_e32 v89, v25, v53
	v_mov_b32_e32 v16, v88
	v_fmac_f32_e32 v17, 0x3f737871, v92
	v_sub_f32_e32 v93, v32, v56
	v_fmac_f32_e32 v16, 0xbf737871, v89
	v_sub_f32_e32 v90, v33, v57
	v_fmac_f32_e32 v17, 0x3f167918, v93
	v_fmac_f32_e32 v16, 0xbf167918, v90
	;; [unrolled: 1-line block ×4, first 2 shown]
	v_mul_f32_e32 v94, 0xbf167918, v17
	v_fmac_f32_e32 v94, 0x3f4f1bbd, v16
	v_mul_f32_e32 v95, 0x3f167918, v16
	s_waitcnt lgkmcnt(0)
	v_add_f32_e32 v16, v22, v2
	v_add_f32_e32 v16, v16, v10
	;; [unrolled: 1-line block ×5, first 2 shown]
	v_fma_f32 v97, -0.5, v16, v22
	v_add_f32_e32 v16, v23, v3
	v_add_f32_e32 v16, v16, v11
	;; [unrolled: 1-line block ×3, first 2 shown]
	v_sub_f32_e32 v103, v2, v14
	v_sub_f32_e32 v105, v10, v6
	;; [unrolled: 1-line block ×4, first 2 shown]
	v_add_f32_e32 v2, v2, v14
	v_add_f32_e32 v101, v16, v15
	;; [unrolled: 1-line block ×4, first 2 shown]
	v_fma_f32 v10, -0.5, v2, v22
	v_add_f32_e32 v2, v3, v15
	v_fma_f32 v102, -0.5, v16, v23
	v_fmac_f32_e32 v23, -0.5, v2
	v_sub_f32_e32 v100, v11, v7
	v_sub_f32_e32 v2, v11, v3
	v_mov_b32_e32 v11, v23
	v_sub_f32_e32 v98, v3, v15
	v_sub_f32_e32 v3, v7, v15
	v_fmac_f32_e32 v11, 0xbf737871, v105
	v_fmac_f32_e32 v23, 0x3f737871, v105
	v_add_f32_e32 v2, v2, v3
	v_fmac_f32_e32 v11, 0x3f167918, v103
	v_fmac_f32_e32 v23, 0xbf167918, v103
	v_mov_b32_e32 v14, v10
	v_fmac_f32_e32 v11, 0x3e9e377a, v2
	v_fmac_f32_e32 v23, 0x3e9e377a, v2
	v_sub_f32_e32 v2, v32, v24
	v_sub_f32_e32 v3, v56, v52
	v_fmac_f32_e32 v14, 0x3f737871, v100
	v_fmac_f32_e32 v10, 0xbf737871, v100
	v_add_f32_e32 v2, v2, v3
	v_add_f32_e32 v3, v24, v52
	v_fmac_f32_e32 v14, 0xbf167918, v98
	v_fmac_f32_e32 v10, 0x3f167918, v98
	v_fma_f32 v3, -0.5, v3, v48
	v_fmac_f32_e32 v14, 0x3e9e377a, v6
	v_fmac_f32_e32 v10, 0x3e9e377a, v6
	v_mov_b32_e32 v6, v3
	v_fmac_f32_e32 v6, 0x3f737871, v90
	v_fmac_f32_e32 v3, 0xbf737871, v90
	;; [unrolled: 1-line block ×6, first 2 shown]
	v_sub_f32_e32 v2, v33, v25
	v_sub_f32_e32 v7, v57, v53
	v_add_f32_e32 v2, v2, v7
	v_add_f32_e32 v7, v25, v53
	v_fma_f32 v7, -0.5, v7, v49
	v_mov_b32_e32 v15, v7
	v_add_f32_e32 v16, v48, v24
	v_fmac_f32_e32 v15, 0xbf737871, v93
	v_fmac_f32_e32 v7, 0x3f737871, v93
	v_add_f32_e32 v16, v16, v32
	v_fmac_f32_e32 v15, 0x3f167918, v92
	v_fmac_f32_e32 v7, 0xbf167918, v92
	;; [unrolled: 3-line block ×3, first 2 shown]
	v_add_f32_e32 v106, v16, v52
	v_add_f32_e32 v16, v49, v25
	v_mul_f32_e32 v22, 0xbf737871, v15
	v_mul_f32_e32 v15, 0x3e9e377a, v15
	;; [unrolled: 1-line block ×4, first 2 shown]
	v_fmac_f32_e32 v91, 0xbf737871, v92
	v_add_f32_e32 v16, v16, v33
	v_fmac_f32_e32 v22, 0x3e9e377a, v6
	v_fmac_f32_e32 v15, 0x3f737871, v6
	;; [unrolled: 1-line block ×6, first 2 shown]
	v_mov_b32_e32 v99, v97
	v_mov_b32_e32 v104, v102
	v_add_f32_e32 v16, v16, v57
	v_add_f32_e32 v2, v14, v22
	;; [unrolled: 1-line block ×5, first 2 shown]
	v_add_u32_e32 v32, 0x2590, v108
	v_fmac_f32_e32 v97, 0x3f737871, v98
	v_fmac_f32_e32 v102, 0xbf737871, v103
	;; [unrolled: 1-line block ×7, first 2 shown]
	v_add_f32_e32 v107, v16, v53
	ds_read2_b64 v[16:19], v77 offset0:112 offset1:232
	ds_read2_b64 v[40:43], v76 offset0:64 offset1:184
	;; [unrolled: 1-line block ×5, first 2 shown]
	s_waitcnt lgkmcnt(0)
	s_barrier
	ds_write2_b64 v32, v[2:3], v[6:7] offset1:1
	v_fmac_f32_e32 v97, 0x3f167918, v100
	v_fmac_f32_e32 v102, 0xbf167918, v105
	;; [unrolled: 1-line block ×3, first 2 shown]
	v_mul_f32_e32 v32, 0xbf167918, v91
	v_mul_f32_e32 v33, 0xbf4f1bbd, v91
	v_fmac_f32_e32 v99, 0xbf167918, v100
	v_fmac_f32_e32 v104, 0x3f167918, v105
	;; [unrolled: 1-line block ×8, first 2 shown]
	v_sub_f32_e32 v2, v96, v106
	v_sub_f32_e32 v3, v101, v107
	v_add_f32_e32 v6, v97, v32
	v_add_f32_e32 v7, v102, v33
	v_add_u32_e32 v48, 0x25a0, v108
	ds_write2_b64 v48, v[6:7], v[2:3] offset1:1
	v_sub_f32_e32 v2, v99, v94
	v_sub_f32_e32 v3, v104, v95
	;; [unrolled: 1-line block ×4, first 2 shown]
	v_add_u32_e32 v11, 0x25b0, v108
	ds_write2_b64 v11, v[2:3], v[6:7] offset1:1
	v_sub_f32_e32 v2, v97, v32
	v_sub_f32_e32 v3, v102, v33
	v_sub_f32_e32 v6, v10, v24
	v_sub_f32_e32 v7, v23, v25
	v_add_u32_e32 v10, 0x25c0, v108
	ds_write2_b64 v10, v[6:7], v[2:3] offset1:1
	v_add_f32_e32 v2, v50, v26
	v_add_f32_e32 v3, v51, v27
	;; [unrolled: 1-line block ×9, first 2 shown]
	v_sub_f32_e32 v2, v40, v44
	v_sub_f32_e32 v3, v28, v36
	v_add_f32_e32 v6, v34, v58
	v_sub_f32_e32 v7, v26, v34
	v_sub_f32_e32 v11, v34, v26
	;; [unrolled: 1-line block ×5, first 2 shown]
	v_add_f32_e32 v52, v2, v3
	v_sub_f32_e32 v2, v41, v45
	v_sub_f32_e32 v3, v29, v37
	v_fma_f32 v14, -0.5, v14, v51
	v_add_f32_e32 v25, v26, v54
	v_sub_f32_e32 v26, v26, v54
	v_add_f32_e32 v53, v2, v3
	v_add_f32_e32 v22, v22, v34
	v_fma_f32 v34, -0.5, v6, v50
	v_mov_b32_e32 v3, v14
	v_sub_f32_e32 v24, v27, v55
	v_mov_b32_e32 v2, v34
	v_fmac_f32_e32 v3, 0x3f737871, v26
	v_sub_f32_e32 v10, v35, v59
	v_sub_f32_e32 v32, v54, v58
	v_fmac_f32_e32 v2, 0xbf737871, v24
	v_fmac_f32_e32 v3, 0x3f167918, v15
	v_add_f32_e32 v32, v7, v32
	v_fmac_f32_e32 v2, 0xbf167918, v10
	v_fmac_f32_e32 v3, 0x3e9e377a, v22
	v_sub_f32_e32 v33, v58, v54
	v_fmac_f32_e32 v2, 0x3e9e377a, v32
	v_mul_f32_e32 v54, 0xbf167918, v3
	v_sub_f32_e32 v23, v35, v27
	v_add_f32_e32 v27, v27, v55
	v_sub_f32_e32 v35, v59, v55
	v_fmac_f32_e32 v54, 0x3f4f1bbd, v2
	v_mul_f32_e32 v55, 0x3f167918, v2
	v_add_f32_e32 v2, v16, v40
	v_add_f32_e32 v2, v2, v44
	;; [unrolled: 1-line block ×5, first 2 shown]
	v_fma_f32 v57, -0.5, v2, v16
	v_add_f32_e32 v2, v17, v41
	v_add_f32_e32 v2, v2, v45
	;; [unrolled: 1-line block ×7, first 2 shown]
	ds_write2_b64 v109, v[81:82], v[83:84] offset1:1
	v_add_f32_e32 v81, v2, v29
	v_add_f32_e32 v2, v45, v37
	v_fma_f32 v82, -0.5, v2, v17
	v_sub_f32_e32 v58, v41, v29
	v_mov_b32_e32 v59, v57
	v_sub_f32_e32 v83, v40, v28
	v_mov_b32_e32 v84, v82
	v_fmac_f32_e32 v59, 0xbf737871, v58
	v_sub_f32_e32 v80, v45, v37
	v_fmac_f32_e32 v84, 0x3f737871, v83
	v_sub_f32_e32 v85, v44, v36
	v_fmac_f32_e32 v59, 0xbf167918, v80
	v_fmac_f32_e32 v84, 0x3f167918, v85
	;; [unrolled: 1-line block ×5, first 2 shown]
	v_add_f32_e32 v2, v56, v48
	v_add_f32_e32 v3, v81, v49
	;; [unrolled: 1-line block ×4, first 2 shown]
	v_add_u32_e32 v86, 0x4b00, v108
	ds_write2_b64 v86, v[2:3], v[6:7] offset1:1
	v_fmac_f32_e32 v51, -0.5, v27
	v_sub_f32_e32 v7, v44, v40
	v_sub_f32_e32 v27, v36, v28
	v_add_f32_e32 v7, v7, v27
	v_add_f32_e32 v27, v40, v28
	v_fma_f32 v16, -0.5, v27, v16
	v_mov_b32_e32 v27, v16
	v_fmac_f32_e32 v27, 0x3f737871, v80
	v_fmac_f32_e32 v16, 0xbf737871, v80
	;; [unrolled: 1-line block ×6, first 2 shown]
	v_add_f32_e32 v7, v41, v29
	v_fmac_f32_e32 v17, -0.5, v7
	v_sub_f32_e32 v7, v45, v41
	v_sub_f32_e32 v28, v37, v29
	v_add_f32_e32 v7, v7, v28
	v_mov_b32_e32 v28, v17
	v_fmac_f32_e32 v28, 0xbf737871, v85
	v_fmac_f32_e32 v17, 0x3f737871, v85
	v_fma_f32 v3, -0.5, v25, v50
	v_mov_b32_e32 v6, v51
	v_fmac_f32_e32 v28, 0x3f167918, v83
	v_fmac_f32_e32 v17, 0xbf167918, v83
	v_fmac_f32_e32 v51, 0x3f737871, v15
	v_fmac_f32_e32 v28, 0x3e9e377a, v7
	v_fmac_f32_e32 v17, 0x3e9e377a, v7
	v_add_f32_e32 v7, v11, v33
	v_mov_b32_e32 v11, v3
	v_fmac_f32_e32 v6, 0xbf737871, v15
	v_add_f32_e32 v2, v23, v35
	v_fmac_f32_e32 v51, 0xbf167918, v26
	v_fmac_f32_e32 v11, 0x3f737871, v10
	v_fmac_f32_e32 v3, 0xbf737871, v10
	v_fmac_f32_e32 v6, 0x3f167918, v26
	v_fmac_f32_e32 v51, 0x3e9e377a, v2
	v_fmac_f32_e32 v11, 0xbf167918, v24
	v_fmac_f32_e32 v3, 0x3f167918, v24
	v_fmac_f32_e32 v6, 0x3e9e377a, v2
	v_mul_f32_e32 v23, 0xbf737871, v51
	v_mul_f32_e32 v25, 0xbe9e377a, v51
	v_fmac_f32_e32 v11, 0x3e9e377a, v7
	v_fmac_f32_e32 v3, 0x3e9e377a, v7
	v_mul_f32_e32 v29, 0xbf737871, v6
	v_mul_f32_e32 v33, 0x3e9e377a, v6
	v_fmac_f32_e32 v14, 0xbf737871, v26
	v_fmac_f32_e32 v29, 0x3e9e377a, v11
	;; [unrolled: 1-line block ×7, first 2 shown]
	v_add_f32_e32 v2, v27, v29
	v_add_f32_e32 v3, v28, v33
	;; [unrolled: 1-line block ×4, first 2 shown]
	v_add_u32_e32 v11, 0x4b10, v108
	v_fmac_f32_e32 v57, 0x3f737871, v58
	v_fmac_f32_e32 v82, 0xbf737871, v83
	;; [unrolled: 1-line block ×4, first 2 shown]
	ds_write2_b64 v11, v[2:3], v[6:7] offset1:1
	v_fmac_f32_e32 v57, 0x3f167918, v80
	v_fmac_f32_e32 v82, 0xbf167918, v85
	;; [unrolled: 1-line block ×3, first 2 shown]
	v_mul_f32_e32 v10, 0xbf167918, v14
	v_mul_f32_e32 v11, 0xbf4f1bbd, v14
	v_fmac_f32_e32 v57, 0x3e9e377a, v52
	v_fmac_f32_e32 v82, 0x3e9e377a, v53
	;; [unrolled: 1-line block ×4, first 2 shown]
	v_sub_f32_e32 v2, v56, v48
	v_sub_f32_e32 v3, v81, v49
	v_add_f32_e32 v6, v57, v10
	v_add_f32_e32 v7, v82, v11
	v_add_u32_e32 v14, 0x4b20, v108
	ds_write2_b64 v14, v[6:7], v[2:3] offset1:1
	v_add_f32_e32 v2, v20, v0
	v_add_f32_e32 v2, v2, v8
	;; [unrolled: 1-line block ×4, first 2 shown]
	v_sub_f32_e32 v7, v9, v5
	v_sub_f32_e32 v14, v0, v8
	;; [unrolled: 1-line block ×3, first 2 shown]
	v_add_f32_e32 v22, v9, v5
	v_sub_f32_e32 v24, v1, v9
	v_sub_f32_e32 v9, v9, v1
	v_sub_f32_e32 v26, v1, v13
	v_add_f32_e32 v32, v0, v12
	v_sub_f32_e32 v34, v0, v12
	v_add_f32_e32 v0, v1, v13
	v_add_f32_e32 v1, v2, v4
	;; [unrolled: 1-line block ×3, first 2 shown]
	v_sub_f32_e32 v8, v8, v4
	v_add_f32_e32 v2, v3, v5
	v_sub_f32_e32 v3, v12, v4
	v_sub_f32_e32 v4, v4, v12
	v_add_f32_e32 v12, v1, v12
	v_fma_f32 v22, -0.5, v22, v21
	v_fma_f32 v21, -0.5, v0, v21
	v_add_f32_e32 v0, v18, v42
	v_add_f32_e32 v1, v19, v43
	v_sub_f32_e32 v35, v13, v5
	v_sub_f32_e32 v5, v5, v13
	v_add_f32_e32 v13, v2, v13
	v_add_f32_e32 v0, v0, v46
	;; [unrolled: 1-line block ×4, first 2 shown]
	v_sub_f32_e32 v36, v42, v46
	v_add_f32_e32 v40, v47, v39
	v_sub_f32_e32 v44, v43, v47
	v_sub_f32_e32 v48, v30, v38
	;; [unrolled: 1-line block ×3, first 2 shown]
	v_add_f32_e32 v0, v0, v38
	v_add_f32_e32 v1, v1, v39
	;; [unrolled: 1-line block ×5, first 2 shown]
	v_fma_f32 v44, -0.5, v2, v18
	v_fma_f32 v40, -0.5, v40, v19
	;; [unrolled: 1-line block ×4, first 2 shown]
	v_sub_f32_e32 v32, v47, v39
	v_sub_f32_e32 v37, v46, v42
	v_sub_f32_e32 v41, v46, v38
	v_sub_f32_e32 v45, v47, v43
	v_sub_f32_e32 v46, v43, v31
	v_add_f32_e32 v47, v42, v30
	v_sub_f32_e32 v42, v42, v30
	v_add_f32_e32 v43, v43, v31
	v_sub_f32_e32 v38, v38, v30
	v_sub_f32_e32 v39, v39, v31
	v_add_f32_e32 v30, v0, v30
	v_add_f32_e32 v31, v1, v31
	v_mov_b32_e32 v0, v44
	v_mov_b32_e32 v1, v40
	v_fmac_f32_e32 v0, 0xbf737871, v46
	v_fmac_f32_e32 v1, 0x3f737871, v42
	;; [unrolled: 1-line block ×4, first 2 shown]
	v_mov_b32_e32 v50, v6
	v_mov_b32_e32 v51, v22
	v_fmac_f32_e32 v0, 0x3e9e377a, v35
	v_fmac_f32_e32 v1, 0x3e9e377a, v36
	;; [unrolled: 1-line block ×4, first 2 shown]
	v_add_f32_e32 v14, v14, v3
	v_mul_f32_e32 v48, 0xbf167918, v1
	v_mul_f32_e32 v49, 0x3f167918, v0
	v_fmac_f32_e32 v50, 0xbf167918, v7
	v_fmac_f32_e32 v51, 0x3f167918, v8
	v_fmac_f32_e32 v48, 0x3f4f1bbd, v0
	v_fmac_f32_e32 v49, 0x3f4f1bbd, v1
	v_fmac_f32_e32 v50, 0x3e9e377a, v14
	v_fmac_f32_e32 v51, 0x3e9e377a, v24
	v_add_f32_e32 v0, v12, v30
	v_add_f32_e32 v1, v13, v31
	;; [unrolled: 1-line block ×4, first 2 shown]
	ds_write2_b64 v108, v[0:1], v[2:3] offset1:1
	v_add_f32_e32 v0, v15, v4
	v_mov_b32_e32 v4, v20
	v_fmac_f32_e32 v4, 0x3f737871, v7
	v_fmac_f32_e32 v20, 0xbf737871, v7
	;; [unrolled: 1-line block ×6, first 2 shown]
	v_add_f32_e32 v0, v9, v5
	v_mov_b32_e32 v5, v21
	v_fma_f32 v1, -0.5, v47, v18
	v_fmac_f32_e32 v5, 0xbf737871, v8
	v_fmac_f32_e32 v21, 0x3f737871, v8
	v_mov_b32_e32 v2, v1
	v_fma_f32 v3, -0.5, v43, v19
	v_fmac_f32_e32 v5, 0x3f167918, v34
	v_fmac_f32_e32 v21, 0xbf167918, v34
	;; [unrolled: 1-line block ×4, first 2 shown]
	v_mov_b32_e32 v9, v3
	v_fmac_f32_e32 v5, 0x3e9e377a, v0
	v_fmac_f32_e32 v21, 0x3e9e377a, v0
	v_add_f32_e32 v0, v37, v38
	v_fmac_f32_e32 v2, 0xbf167918, v46
	v_fmac_f32_e32 v1, 0x3f167918, v46
	;; [unrolled: 1-line block ×6, first 2 shown]
	v_add_f32_e32 v0, v45, v39
	v_fmac_f32_e32 v9, 0x3f167918, v42
	v_fmac_f32_e32 v3, 0xbf167918, v42
	;; [unrolled: 1-line block ×7, first 2 shown]
	v_mul_f32_e32 v15, 0xbf737871, v9
	v_mul_f32_e32 v9, 0x3e9e377a, v9
	;; [unrolled: 1-line block ×4, first 2 shown]
	v_fmac_f32_e32 v6, 0x3f737871, v26
	v_fmac_f32_e32 v22, 0xbf737871, v34
	;; [unrolled: 1-line block ×11, first 2 shown]
	v_mul_f32_e32 v7, 0xbf167918, v40
	v_mul_f32_e32 v8, 0xbf4f1bbd, v40
	v_add_f32_e32 v0, v4, v15
	v_add_f32_e32 v1, v5, v9
	;; [unrolled: 1-line block ×4, first 2 shown]
	v_fmac_f32_e32 v6, 0x3e9e377a, v14
	v_fmac_f32_e32 v22, 0x3e9e377a, v24
	v_fmac_f32_e32 v7, 0xbf4f1bbd, v44
	v_fmac_f32_e32 v8, 0x3f167918, v44
	ds_write2_b64 v108, v[0:1], v[2:3] offset0:2 offset1:3
	v_sub_f32_e32 v0, v12, v30
	v_sub_f32_e32 v1, v13, v31
	v_add_f32_e32 v2, v6, v7
	v_add_f32_e32 v3, v22, v8
	ds_write2_b64 v108, v[2:3], v[0:1] offset0:4 offset1:5
	v_sub_f32_e32 v0, v50, v48
	v_sub_f32_e32 v1, v51, v49
	v_sub_f32_e32 v2, v4, v15
	v_sub_f32_e32 v3, v5, v9
	ds_write2_b64 v108, v[0:1], v[2:3] offset0:6 offset1:7
	v_sub_f32_e32 v0, v20, v18
	v_sub_f32_e32 v1, v21, v19
	v_sub_f32_e32 v2, v6, v7
	v_sub_f32_e32 v3, v22, v8
	;; [unrolled: 5-line block ×3, first 2 shown]
	v_add_u32_e32 v8, 0x4b30, v108
	v_sub_f32_e32 v1, v17, v25
	v_sub_f32_e32 v0, v16, v23
	;; [unrolled: 1-line block ×4, first 2 shown]
	ds_write2_b64 v8, v[2:3], v[4:5] offset1:1
	v_add_u32_e32 v2, 0x4b40, v108
	v_add_u16_e32 v5, 0x78, v62
	ds_write2_b64 v2, v[0:1], v[6:7] offset1:1
	v_mul_lo_u16_sdwa v1, v5, s7 dst_sel:DWORD dst_unused:UNUSED_PAD src0_sel:BYTE_0 src1_sel:DWORD
	v_lshrrev_b16_e32 v9, 11, v1
	v_mul_lo_u16_e32 v1, 10, v9
	v_mov_b32_e32 v0, 9
	v_sub_u16_e32 v10, v5, v1
	v_mul_u32_u24_sdwa v1, v10, v0 dst_sel:DWORD dst_unused:UNUSED_PAD src0_sel:BYTE_0 src1_sel:DWORD
	v_add_u32_e32 v6, 0xf0, v62
	v_lshlrev_b32_e32 v19, 3, v1
	v_mul_u32_u24_sdwa v1, v6, s8 dst_sel:DWORD dst_unused:UNUSED_PAD src0_sel:WORD_0 src1_sel:DWORD
	v_lshrrev_b32_e32 v4, 19, v1
	v_mul_lo_u16_e32 v1, 10, v4
	v_sub_u16_e32 v8, v6, v1
	s_waitcnt lgkmcnt(0)
	s_barrier
	global_load_dwordx2 v[15:16], v19, s[12:13] offset:64
	v_mul_u32_u24_e32 v1, 9, v8
	v_lshlrev_b32_e32 v29, 3, v1
	global_load_dwordx2 v[17:18], v29, s[12:13] offset:64
	v_mul_lo_u16_sdwa v1, v62, s7 dst_sel:DWORD dst_unused:UNUSED_PAD src0_sel:BYTE_0 src1_sel:DWORD
	v_lshrrev_b16_e32 v7, 11, v1
	v_mul_lo_u16_e32 v1, 10, v7
	v_sub_u16_e32 v37, v62, v1
	v_mul_u32_u24_sdwa v0, v37, v0 dst_sel:DWORD dst_unused:UNUSED_PAD src0_sel:BYTE_0 src1_sel:DWORD
	v_lshlrev_b32_e32 v46, 3, v0
	global_load_dwordx2 v[35:36], v46, s[12:13] offset:64
	global_load_dwordx4 v[0:3], v29, s[12:13] offset:48
	global_load_dwordx4 v[21:24], v19, s[12:13] offset:48
	;; [unrolled: 1-line block ×7, first 2 shown]
	ds_read2_b64 v[11:14], v72 offset0:32 offset1:152
	global_load_dwordx4 v[88:91], v19, s[12:13] offset:16
	ds_read2_b64 v[31:34], v78 offset0:48 offset1:168
	global_load_dwordx4 v[92:95], v46, s[12:13] offset:16
	global_load_dwordx4 v[96:99], v19, s[12:13]
	global_load_dwordx4 v[100:103], v29, s[12:13]
	;; [unrolled: 1-line block ×3, first 2 shown]
	ds_read2_b64 v[54:57], v79 offset0:96 offset1:216
	s_movk_i32 s7, 0x64
	v_cmp_gt_u32_e32 vcc, s7, v62
	s_movk_i32 s7, 0x63
	s_waitcnt vmcnt(14) lgkmcnt(2)
	v_mul_f32_e32 v20, v12, v16
	v_fmac_f32_e32 v20, v11, v15
	v_mul_f32_e32 v11, v11, v16
	v_fma_f32 v30, v12, v15, -v11
	s_waitcnt vmcnt(13)
	v_mul_f32_e32 v12, v14, v18
	v_fmac_f32_e32 v12, v13, v17
	v_mul_f32_e32 v11, v13, v18
	s_waitcnt vmcnt(12) lgkmcnt(1)
	v_mul_f32_e32 v49, v34, v36
	v_mul_f32_e32 v13, v33, v36
	v_fmac_f32_e32 v49, v33, v35
	v_fma_f32 v48, v34, v35, -v13
	ds_read2_b64 v[33:36], v73 offset0:80 offset1:200
	v_fma_f32 v11, v14, v17, -v11
	s_waitcnt vmcnt(11)
	v_mul_f32_e32 v16, v32, v3
	v_mul_f32_e32 v3, v31, v3
	v_fmac_f32_e32 v16, v31, v2
	s_waitcnt lgkmcnt(0)
	v_mul_f32_e32 v14, v36, v1
	v_mul_f32_e32 v1, v35, v1
	v_fma_f32 v15, v32, v2, -v3
	v_fmac_f32_e32 v14, v35, v0
	v_fma_f32 v13, v36, v0, -v1
	ds_read2_b64 v[0:3], v67 offset0:64 offset1:184
	s_waitcnt vmcnt(10)
	v_mul_f32_e32 v32, v34, v22
	v_fmac_f32_e32 v32, v33, v21
	v_mul_f32_e32 v17, v33, v22
	s_waitcnt vmcnt(9)
	v_mul_f32_e32 v51, v57, v26
	s_waitcnt lgkmcnt(0)
	v_mul_f32_e32 v52, v1, v28
	v_mul_f32_e32 v35, v3, v24
	v_fmac_f32_e32 v52, v0, v27
	v_mul_f32_e32 v0, v0, v28
	v_fmac_f32_e32 v35, v2, v23
	v_mul_f32_e32 v2, v2, v24
	v_fma_f32 v53, v1, v27, -v0
	v_mul_f32_e32 v0, v56, v26
	v_fma_f32 v33, v3, v23, -v2
	v_fma_f32 v50, v57, v25, -v0
	ds_read2_b64 v[0:3], v70 offset0:128 offset1:248
	v_fmac_f32_e32 v51, v56, v25
	ds_read2_b64 v[23:26], v63 offset0:112 offset1:232
	v_fma_f32 v31, v34, v21, -v17
	s_waitcnt vmcnt(8)
	v_mul_f32_e32 v17, v54, v41
	s_waitcnt vmcnt(7) lgkmcnt(1)
	v_mul_f32_e32 v36, v1, v43
	v_mul_f32_e32 v18, v3, v39
	v_fmac_f32_e32 v36, v0, v42
	v_mul_f32_e32 v0, v0, v43
	v_fmac_f32_e32 v18, v2, v38
	v_mul_f32_e32 v2, v2, v39
	v_fma_f32 v34, v1, v42, -v0
	s_waitcnt lgkmcnt(0)
	v_mul_f32_e32 v0, v25, v45
	v_fma_f32 v19, v55, v40, -v17
	v_fma_f32 v17, v3, v38, -v2
	;; [unrolled: 1-line block ×3, first 2 shown]
	ds_read2_b64 v[0:3], v75 offset0:16 offset1:136
	v_mul_f32_e32 v42, v26, v45
	v_fmac_f32_e32 v42, v25, v44
	ds_read2_b64 v[43:46], v71 offset0:48 offset1:168
	v_mul_f32_e32 v22, v55, v41
	s_waitcnt vmcnt(5) lgkmcnt(1)
	v_mul_f32_e32 v27, v1, v87
	v_mul_f32_e32 v55, v3, v81
	v_fmac_f32_e32 v27, v0, v86
	v_mul_f32_e32 v0, v0, v87
	v_mul_f32_e32 v21, v23, v83
	v_fmac_f32_e32 v55, v2, v80
	v_mul_f32_e32 v2, v2, v81
	v_fma_f32 v26, v1, v86, -v0
	s_waitcnt lgkmcnt(0)
	v_mul_f32_e32 v0, v45, v85
	v_fmac_f32_e32 v22, v54, v40
	v_fma_f32 v56, v24, v82, -v21
	v_fma_f32 v54, v3, v80, -v2
	;; [unrolled: 1-line block ×3, first 2 shown]
	ds_read2_b64 v[0:3], v68 offset0:32 offset1:152
	v_mul_f32_e32 v58, v24, v83
	v_mul_f32_e32 v24, v46, v85
	v_fmac_f32_e32 v24, v45, v84
	ds_read2_b64 v[83:86], v76 offset0:64 offset1:184
	v_fmac_f32_e32 v58, v23, v82
	s_waitcnt vmcnt(3) lgkmcnt(1)
	v_mul_f32_e32 v82, v1, v95
	v_mul_f32_e32 v45, v3, v91
	v_fmac_f32_e32 v82, v0, v94
	v_mul_f32_e32 v0, v0, v95
	v_mul_f32_e32 v23, v43, v89
	v_fmac_f32_e32 v45, v2, v90
	v_mul_f32_e32 v2, v2, v91
	v_fma_f32 v81, v1, v94, -v0
	s_waitcnt lgkmcnt(0)
	v_mul_f32_e32 v0, v85, v93
	v_mul_f32_e32 v41, v44, v89
	v_fma_f32 v38, v44, v88, -v23
	v_fma_f32 v44, v3, v90, -v2
	;; [unrolled: 1-line block ×3, first 2 shown]
	ds_read2_b64 v[0:3], v74 offset0:96 offset1:216
	v_mul_f32_e32 v59, v86, v93
	s_waitcnt vmcnt(1)
	v_mul_f32_e32 v29, v84, v103
	v_mul_f32_e32 v23, v83, v103
	v_fmac_f32_e32 v59, v85, v92
	v_fmac_f32_e32 v29, v83, v102
	v_fma_f32 v28, v84, v102, -v23
	ds_read2_b64 v[83:86], v69 offset0:80 offset1:200
	s_waitcnt lgkmcnt(1)
	v_mul_f32_e32 v40, v1, v97
	v_mul_f32_e32 v23, v3, v101
	v_fmac_f32_e32 v40, v0, v96
	v_mul_f32_e32 v0, v0, v97
	v_fmac_f32_e32 v41, v43, v88
	v_fmac_f32_e32 v23, v2, v100
	v_mul_f32_e32 v2, v2, v101
	v_fma_f32 v43, v1, v96, -v0
	s_waitcnt lgkmcnt(0)
	v_mul_f32_e32 v0, v85, v99
	v_fma_f32 v25, v3, v100, -v2
	v_fma_f32 v46, v86, v98, -v0
	ds_read2_b64 v[0:3], v77 offset0:112 offset1:232
	v_mul_f32_e32 v47, v86, v99
	v_fmac_f32_e32 v47, v85, v98
	s_waitcnt vmcnt(0)
	v_mul_f32_e32 v85, v84, v107
	v_mul_f32_e32 v80, v83, v107
	v_fmac_f32_e32 v85, v83, v106
	v_fma_f32 v83, v84, v106, -v80
	s_waitcnt lgkmcnt(0)
	v_mul_f32_e32 v80, v105, v3
	v_fmac_f32_e32 v80, v104, v2
	v_mul_f32_e32 v2, v105, v2
	v_fma_f32 v3, v104, v3, -v2
	v_sub_f32_e32 v2, v85, v82
	v_sub_f32_e32 v84, v52, v58
	v_add_f32_e32 v2, v2, v84
	v_sub_f32_e32 v84, v83, v81
	v_sub_f32_e32 v86, v53, v56
	v_add_f32_e32 v84, v84, v86
	;; [unrolled: 3-line block ×4, first 2 shown]
	v_add_f32_e32 v88, v87, v88
	v_add_f32_e32 v87, v55, v51
	v_fma_f32 v89, -0.5, v89, v3
	v_fma_f32 v87, -0.5, v87, v80
	v_sub_f32_e32 v92, v59, v49
	v_mov_b32_e32 v95, v89
	v_sub_f32_e32 v90, v57, v48
	v_mov_b32_e32 v96, v87
	v_fmac_f32_e32 v95, 0x3f737871, v92
	v_sub_f32_e32 v93, v55, v51
	v_fmac_f32_e32 v96, 0xbf737871, v90
	v_sub_f32_e32 v91, v54, v50
	v_fmac_f32_e32 v95, 0x3f167918, v93
	v_fmac_f32_e32 v96, 0xbf167918, v91
	;; [unrolled: 1-line block ×4, first 2 shown]
	v_mul_f32_e32 v94, 0xbf167918, v95
	v_mul_f32_e32 v95, 0x3f4f1bbd, v95
	v_fmac_f32_e32 v94, 0x3f4f1bbd, v96
	v_fmac_f32_e32 v95, 0x3f167918, v96
	ds_read2_b64 v[96:99], v66 offset1:120
	v_mul_u32_u24_e32 v100, 0x320, v7
	v_mov_b32_e32 v7, 3
	v_lshlrev_b32_sdwa v37, v7, v37 dst_sel:DWORD dst_unused:UNUSED_PAD src0_sel:DWORD src1_sel:BYTE_0
	v_add3_u32 v37, 0, v100, v37
	s_waitcnt lgkmcnt(0)
	v_add_f32_e32 v100, v96, v85
	v_add_f32_e32 v100, v100, v82
	;; [unrolled: 1-line block ×5, first 2 shown]
	v_sub_f32_e32 v111, v85, v52
	v_sub_f32_e32 v113, v82, v58
	;; [unrolled: 1-line block ×3, first 2 shown]
	v_add_f32_e32 v85, v85, v52
	v_sub_f32_e32 v52, v58, v52
	v_fma_f32 v58, -0.5, v85, v96
	v_fma_f32 v105, -0.5, v100, v96
	v_sub_f32_e32 v108, v81, v56
	v_add_f32_e32 v100, v97, v83
	v_add_f32_e32 v52, v82, v52
	v_mov_b32_e32 v82, v58
	v_sub_f32_e32 v106, v83, v53
	v_add_f32_e32 v100, v100, v81
	v_fmac_f32_e32 v82, 0x3f737871, v108
	v_fmac_f32_e32 v58, 0xbf737871, v108
	v_add_f32_e32 v100, v100, v56
	v_fmac_f32_e32 v82, 0xbf167918, v106
	v_fmac_f32_e32 v58, 0x3f167918, v106
	v_add_f32_e32 v109, v100, v53
	v_add_f32_e32 v100, v81, v56
	v_fmac_f32_e32 v82, 0x3e9e377a, v52
	v_fmac_f32_e32 v58, 0x3e9e377a, v52
	v_sub_f32_e32 v52, v81, v83
	v_add_f32_e32 v81, v83, v53
	v_sub_f32_e32 v53, v56, v53
	v_add_f32_e32 v52, v52, v53
	v_fma_f32 v53, -0.5, v81, v97
	v_mov_b32_e32 v56, v53
	v_fmac_f32_e32 v56, 0xbf737871, v113
	v_fmac_f32_e32 v53, 0x3f737871, v113
	v_fma_f32 v110, -0.5, v100, v97
	v_add_f32_e32 v100, v80, v59
	v_fmac_f32_e32 v56, 0x3f167918, v111
	v_fmac_f32_e32 v53, 0xbf167918, v111
	v_add_f32_e32 v100, v100, v55
	v_fmac_f32_e32 v56, 0x3e9e377a, v52
	v_fmac_f32_e32 v53, 0x3e9e377a, v52
	v_add_f32_e32 v52, v59, v49
	v_add_f32_e32 v100, v100, v51
	v_fmac_f32_e32 v80, -0.5, v52
	v_add_f32_e32 v114, v100, v49
	v_sub_f32_e32 v49, v51, v49
	v_mov_b32_e32 v51, v80
	v_add_f32_e32 v100, v3, v57
	v_sub_f32_e32 v52, v55, v59
	v_fmac_f32_e32 v51, 0x3f737871, v91
	v_fmac_f32_e32 v80, 0xbf737871, v91
	v_add_f32_e32 v100, v100, v54
	v_add_f32_e32 v49, v52, v49
	v_fmac_f32_e32 v51, 0xbf167918, v90
	v_fmac_f32_e32 v80, 0x3f167918, v90
	v_add_f32_e32 v100, v100, v50
	v_fmac_f32_e32 v51, 0x3e9e377a, v49
	v_fmac_f32_e32 v80, 0x3e9e377a, v49
	v_add_f32_e32 v49, v57, v48
	v_add_f32_e32 v115, v100, v48
	v_fmac_f32_e32 v3, -0.5, v49
	v_sub_f32_e32 v49, v54, v57
	v_sub_f32_e32 v48, v50, v48
	v_add_f32_e32 v48, v49, v48
	v_mov_b32_e32 v49, v3
	v_fmac_f32_e32 v49, 0xbf737871, v93
	v_fmac_f32_e32 v3, 0x3f737871, v93
	;; [unrolled: 1-line block ×6, first 2 shown]
	v_mul_f32_e32 v52, 0xbf737871, v49
	v_mul_f32_e32 v54, 0x3e9e377a, v49
	;; [unrolled: 1-line block ×4, first 2 shown]
	v_fmac_f32_e32 v89, 0xbf737871, v92
	v_fmac_f32_e32 v52, 0x3e9e377a, v51
	;; [unrolled: 1-line block ×7, first 2 shown]
	v_mov_b32_e32 v107, v105
	v_mov_b32_e32 v112, v110
	v_add_f32_e32 v48, v82, v52
	v_add_f32_e32 v49, v56, v54
	;; [unrolled: 1-line block ×4, first 2 shown]
	v_fmac_f32_e32 v105, 0x3f737871, v106
	v_fmac_f32_e32 v110, 0xbf737871, v111
	;; [unrolled: 1-line block ×6, first 2 shown]
	s_barrier
	ds_write2_b64 v37, v[48:49], v[50:51] offset0:20 offset1:30
	v_fmac_f32_e32 v105, 0x3f167918, v108
	v_fmac_f32_e32 v110, 0xbf167918, v113
	v_fmac_f32_e32 v87, 0x3e9e377a, v86
	v_mul_f32_e32 v50, 0xbf167918, v89
	v_mul_f32_e32 v51, 0xbf4f1bbd, v89
	v_fmac_f32_e32 v107, 0xbf167918, v108
	v_fmac_f32_e32 v112, 0x3f167918, v113
	;; [unrolled: 1-line block ×8, first 2 shown]
	v_sub_f32_e32 v48, v104, v114
	v_sub_f32_e32 v49, v109, v115
	v_add_f32_e32 v2, v105, v50
	v_add_f32_e32 v3, v110, v51
	ds_write2_b64 v37, v[2:3], v[48:49] offset0:40 offset1:50
	v_sub_f32_e32 v2, v107, v94
	v_sub_f32_e32 v3, v112, v95
	;; [unrolled: 1-line block ×4, first 2 shown]
	ds_write2_b64 v37, v[2:3], v[48:49] offset0:60 offset1:70
	v_sub_f32_e32 v2, v58, v55
	v_sub_f32_e32 v3, v53, v57
	;; [unrolled: 1-line block ×4, first 2 shown]
	v_add_f32_e32 v100, v104, v114
	v_add_f32_e32 v101, v109, v115
	;; [unrolled: 1-line block ×4, first 2 shown]
	ds_write2_b64 v37, v[2:3], v[48:49] offset0:80 offset1:90
	v_sub_f32_e32 v2, v47, v45
	v_sub_f32_e32 v3, v35, v42
	ds_write2_b64 v37, v[100:101], v[102:103] offset1:10
	v_add_f32_e32 v37, v2, v3
	v_sub_f32_e32 v2, v46, v44
	v_sub_f32_e32 v3, v33, v39
	v_add_f32_e32 v48, v2, v3
	v_sub_f32_e32 v2, v41, v36
	v_sub_f32_e32 v3, v20, v32
	;; [unrolled: 3-line block ×3, first 2 shown]
	v_add_f32_e32 v50, v2, v3
	v_add_f32_e32 v3, v34, v31
	;; [unrolled: 1-line block ×3, first 2 shown]
	v_fma_f32 v54, -0.5, v3, v43
	v_fma_f32 v51, -0.5, v2, v40
	v_sub_f32_e32 v55, v41, v20
	v_mov_b32_e32 v3, v54
	v_sub_f32_e32 v52, v38, v30
	v_mov_b32_e32 v2, v51
	v_fmac_f32_e32 v3, 0x3f737871, v55
	v_sub_f32_e32 v56, v36, v32
	v_fmac_f32_e32 v2, 0xbf737871, v52
	v_sub_f32_e32 v53, v34, v31
	v_fmac_f32_e32 v3, 0x3f167918, v56
	v_fmac_f32_e32 v2, 0xbf167918, v53
	v_fmac_f32_e32 v3, 0x3e9e377a, v50
	v_fmac_f32_e32 v2, 0x3e9e377a, v49
	v_mul_f32_e32 v57, 0xbf167918, v3
	v_mul_f32_e32 v58, 0x3f4f1bbd, v3
	v_fmac_f32_e32 v57, 0x3f4f1bbd, v2
	v_fmac_f32_e32 v58, 0x3f167918, v2
	v_mul_u32_u24_e32 v2, 0x320, v9
	v_lshlrev_b32_sdwa v3, v7, v10 dst_sel:DWORD dst_unused:UNUSED_PAD src0_sel:DWORD src1_sel:BYTE_0
	v_add3_u32 v59, 0, v2, v3
	v_add_f32_e32 v2, v98, v47
	v_add_f32_e32 v2, v2, v45
	;; [unrolled: 1-line block ×5, first 2 shown]
	v_fma_f32 v81, -0.5, v2, v98
	v_add_f32_e32 v2, v99, v46
	v_add_f32_e32 v2, v2, v44
	;; [unrolled: 1-line block ×5, first 2 shown]
	v_fma_f32 v86, -0.5, v2, v99
	v_add_f32_e32 v2, v40, v41
	v_add_f32_e32 v2, v2, v36
	;; [unrolled: 1-line block ×3, first 2 shown]
	v_sub_f32_e32 v82, v46, v33
	v_mov_b32_e32 v83, v81
	v_sub_f32_e32 v87, v47, v35
	v_mov_b32_e32 v88, v86
	v_add_f32_e32 v90, v2, v20
	v_add_f32_e32 v2, v43, v38
	v_fmac_f32_e32 v83, 0xbf737871, v82
	v_sub_f32_e32 v84, v44, v39
	v_fmac_f32_e32 v88, 0x3f737871, v87
	v_sub_f32_e32 v89, v45, v42
	v_add_f32_e32 v2, v2, v34
	v_fmac_f32_e32 v83, 0xbf167918, v84
	v_fmac_f32_e32 v88, 0x3f167918, v89
	v_add_f32_e32 v2, v2, v31
	v_fmac_f32_e32 v83, 0x3e9e377a, v37
	v_fmac_f32_e32 v88, 0x3e9e377a, v48
	v_add_f32_e32 v91, v2, v30
	v_add_f32_e32 v2, v80, v90
	;; [unrolled: 1-line block ×5, first 2 shown]
	ds_write2_b64 v59, v[2:3], v[9:10] offset1:10
	v_add_f32_e32 v3, v47, v35
	v_sub_f32_e32 v9, v42, v35
	v_fma_f32 v35, -0.5, v3, v98
	v_mov_b32_e32 v42, v35
	v_sub_f32_e32 v2, v45, v47
	v_fmac_f32_e32 v42, 0x3f737871, v84
	v_fmac_f32_e32 v35, 0xbf737871, v84
	v_add_f32_e32 v2, v2, v9
	v_fmac_f32_e32 v42, 0xbf167918, v82
	v_fmac_f32_e32 v35, 0x3f167918, v82
	;; [unrolled: 1-line block ×4, first 2 shown]
	v_add_f32_e32 v2, v46, v33
	v_fmac_f32_e32 v99, -0.5, v2
	v_sub_f32_e32 v3, v39, v33
	v_mov_b32_e32 v33, v99
	v_sub_f32_e32 v2, v44, v46
	v_fmac_f32_e32 v33, 0xbf737871, v89
	v_fmac_f32_e32 v99, 0x3f737871, v89
	v_add_f32_e32 v2, v2, v3
	v_fmac_f32_e32 v33, 0x3f167918, v87
	v_fmac_f32_e32 v99, 0xbf167918, v87
	;; [unrolled: 1-line block ×4, first 2 shown]
	v_add_f32_e32 v2, v41, v20
	v_fmac_f32_e32 v40, -0.5, v2
	v_sub_f32_e32 v2, v36, v41
	v_sub_f32_e32 v3, v32, v20
	v_add_f32_e32 v2, v2, v3
	v_mov_b32_e32 v3, v40
	v_fmac_f32_e32 v3, 0x3f737871, v53
	v_fmac_f32_e32 v40, 0xbf737871, v53
	;; [unrolled: 1-line block ×6, first 2 shown]
	v_add_f32_e32 v2, v38, v30
	v_fmac_f32_e32 v43, -0.5, v2
	v_sub_f32_e32 v2, v34, v38
	v_sub_f32_e32 v9, v31, v30
	v_add_f32_e32 v2, v2, v9
	v_mov_b32_e32 v9, v43
	v_fmac_f32_e32 v9, 0xbf737871, v56
	v_fmac_f32_e32 v43, 0x3f737871, v56
	;; [unrolled: 1-line block ×9, first 2 shown]
	v_mul_f32_e32 v20, 0xbf737871, v9
	v_mul_f32_e32 v30, 0x3e9e377a, v9
	;; [unrolled: 1-line block ×4, first 2 shown]
	v_fmac_f32_e32 v81, 0x3f737871, v82
	v_fmac_f32_e32 v86, 0xbf737871, v87
	;; [unrolled: 1-line block ×11, first 2 shown]
	v_mul_f32_e32 v34, 0xbf167918, v54
	v_mul_f32_e32 v36, 0xbf4f1bbd, v54
	v_add_f32_e32 v2, v42, v20
	v_add_f32_e32 v3, v33, v30
	;; [unrolled: 1-line block ×4, first 2 shown]
	v_fmac_f32_e32 v81, 0x3e9e377a, v37
	v_fmac_f32_e32 v86, 0x3e9e377a, v48
	;; [unrolled: 1-line block ×4, first 2 shown]
	ds_write2_b64 v59, v[2:3], v[9:10] offset0:20 offset1:30
	v_sub_f32_e32 v2, v80, v90
	v_sub_f32_e32 v3, v85, v91
	v_add_f32_e32 v9, v81, v34
	v_add_f32_e32 v10, v86, v36
	ds_write2_b64 v59, v[9:10], v[2:3] offset0:40 offset1:50
	v_sub_f32_e32 v2, v83, v57
	v_sub_f32_e32 v3, v88, v58
	;; [unrolled: 1-line block ×4, first 2 shown]
	ds_write2_b64 v59, v[2:3], v[9:10] offset0:60 offset1:70
	v_sub_f32_e32 v3, v99, v32
	v_sub_f32_e32 v2, v35, v31
	;; [unrolled: 1-line block ×4, first 2 shown]
	ds_write2_b64 v59, v[2:3], v[9:10] offset0:80 offset1:90
	v_sub_f32_e32 v2, v29, v27
	v_sub_f32_e32 v3, v16, v22
	v_add_f32_e32 v10, v2, v3
	v_sub_f32_e32 v2, v28, v26
	v_sub_f32_e32 v3, v15, v19
	v_add_f32_e32 v20, v2, v3
	;; [unrolled: 3-line block ×4, first 2 shown]
	v_add_f32_e32 v3, v17, v13
	v_add_f32_e32 v2, v18, v14
	v_fma_f32 v35, -0.5, v3, v25
	v_fma_f32 v32, -0.5, v2, v23
	v_sub_f32_e32 v36, v24, v12
	v_mov_b32_e32 v3, v35
	v_sub_f32_e32 v33, v21, v11
	v_mov_b32_e32 v2, v32
	v_fmac_f32_e32 v3, 0x3f737871, v36
	v_sub_f32_e32 v37, v18, v14
	v_fmac_f32_e32 v2, 0xbf737871, v33
	v_sub_f32_e32 v34, v17, v13
	v_fmac_f32_e32 v3, 0x3f167918, v37
	v_fmac_f32_e32 v2, 0xbf167918, v34
	v_fmac_f32_e32 v3, 0x3e9e377a, v31
	v_fmac_f32_e32 v2, 0x3e9e377a, v30
	v_mul_f32_e32 v38, 0xbf167918, v3
	v_mul_f32_e32 v39, 0x3f4f1bbd, v3
	v_fmac_f32_e32 v38, 0x3f4f1bbd, v2
	v_fmac_f32_e32 v39, 0x3f167918, v2
	v_mul_u32_u24_e32 v2, 0x320, v4
	v_lshlrev_b32_e32 v3, 3, v8
	v_add3_u32 v4, 0, v2, v3
	v_add_f32_e32 v2, v0, v29
	v_add_f32_e32 v2, v2, v27
	;; [unrolled: 1-line block ×5, first 2 shown]
	v_fma_f32 v41, -0.5, v2, v0
	v_add_f32_e32 v2, v1, v28
	v_add_f32_e32 v2, v2, v26
	;; [unrolled: 1-line block ×5, first 2 shown]
	v_fma_f32 v46, -0.5, v2, v1
	v_add_f32_e32 v2, v23, v24
	v_add_f32_e32 v2, v2, v18
	;; [unrolled: 1-line block ×3, first 2 shown]
	v_sub_f32_e32 v42, v28, v15
	v_mov_b32_e32 v43, v41
	v_sub_f32_e32 v47, v29, v16
	v_mov_b32_e32 v48, v46
	v_add_f32_e32 v50, v2, v12
	v_add_f32_e32 v2, v25, v21
	v_fmac_f32_e32 v43, 0xbf737871, v42
	v_sub_f32_e32 v44, v26, v19
	v_fmac_f32_e32 v48, 0x3f737871, v47
	v_sub_f32_e32 v49, v27, v22
	v_add_f32_e32 v2, v2, v17
	v_fmac_f32_e32 v43, 0xbf167918, v44
	v_fmac_f32_e32 v48, 0x3f167918, v49
	v_add_f32_e32 v2, v2, v13
	v_fmac_f32_e32 v43, 0x3e9e377a, v10
	v_fmac_f32_e32 v48, 0x3e9e377a, v20
	v_add_f32_e32 v51, v2, v11
	v_add_f32_e32 v2, v40, v50
	v_add_f32_e32 v3, v45, v51
	v_add_f32_e32 v8, v43, v38
	v_add_f32_e32 v9, v48, v39
	ds_write2_b64 v4, v[2:3], v[8:9] offset1:10
	v_add_f32_e32 v3, v29, v16
	v_fma_f32 v0, -0.5, v3, v0
	v_sub_f32_e32 v8, v22, v16
	v_mov_b32_e32 v16, v0
	v_sub_f32_e32 v2, v27, v29
	v_fmac_f32_e32 v16, 0x3f737871, v44
	v_fmac_f32_e32 v0, 0xbf737871, v44
	v_add_f32_e32 v2, v2, v8
	v_fmac_f32_e32 v16, 0xbf167918, v42
	v_fmac_f32_e32 v0, 0x3f167918, v42
	v_fmac_f32_e32 v16, 0x3e9e377a, v2
	v_fmac_f32_e32 v0, 0x3e9e377a, v2
	v_add_f32_e32 v2, v28, v15
	v_fmac_f32_e32 v1, -0.5, v2
	v_sub_f32_e32 v3, v19, v15
	v_mov_b32_e32 v15, v1
	v_sub_f32_e32 v2, v26, v28
	v_fmac_f32_e32 v15, 0xbf737871, v49
	v_fmac_f32_e32 v1, 0x3f737871, v49
	v_add_f32_e32 v2, v2, v3
	v_fmac_f32_e32 v15, 0x3f167918, v47
	v_fmac_f32_e32 v1, 0xbf167918, v47
	;; [unrolled: 1-line block ×4, first 2 shown]
	v_add_f32_e32 v2, v24, v12
	v_fmac_f32_e32 v23, -0.5, v2
	v_sub_f32_e32 v2, v18, v24
	v_sub_f32_e32 v3, v14, v12
	v_add_f32_e32 v2, v2, v3
	v_mov_b32_e32 v3, v23
	v_fmac_f32_e32 v3, 0x3f737871, v34
	v_fmac_f32_e32 v23, 0xbf737871, v34
	;; [unrolled: 1-line block ×6, first 2 shown]
	v_add_f32_e32 v2, v21, v11
	v_fmac_f32_e32 v25, -0.5, v2
	v_sub_f32_e32 v2, v17, v21
	v_sub_f32_e32 v8, v13, v11
	v_add_f32_e32 v2, v2, v8
	v_mov_b32_e32 v8, v25
	v_fmac_f32_e32 v8, 0xbf737871, v37
	v_fmac_f32_e32 v25, 0x3f737871, v37
	;; [unrolled: 1-line block ×10, first 2 shown]
	v_mul_f32_e32 v11, 0xbf737871, v8
	v_mul_f32_e32 v12, 0x3e9e377a, v8
	;; [unrolled: 1-line block ×4, first 2 shown]
	v_fmac_f32_e32 v41, 0x3f167918, v44
	v_fmac_f32_e32 v46, 0xbf737871, v47
	v_fmac_f32_e32 v32, 0x3f167918, v34
	v_fmac_f32_e32 v35, 0x3e9e377a, v31
	v_fmac_f32_e32 v11, 0x3e9e377a, v3
	v_fmac_f32_e32 v12, 0x3f737871, v3
	v_fmac_f32_e32 v13, 0xbe9e377a, v23
	v_fmac_f32_e32 v14, 0x3f737871, v23
	v_fmac_f32_e32 v41, 0x3e9e377a, v10
	v_fmac_f32_e32 v46, 0xbf167918, v49
	v_fmac_f32_e32 v32, 0x3e9e377a, v30
	v_mul_f32_e32 v10, 0xbf167918, v35
	v_mul_f32_e32 v17, 0xbf4f1bbd, v35
	v_add_f32_e32 v2, v16, v11
	v_add_f32_e32 v3, v15, v12
	;; [unrolled: 1-line block ×4, first 2 shown]
	v_fmac_f32_e32 v46, 0x3e9e377a, v20
	v_fmac_f32_e32 v10, 0xbf4f1bbd, v32
	;; [unrolled: 1-line block ×3, first 2 shown]
	ds_write2_b64 v4, v[2:3], v[8:9] offset0:20 offset1:30
	v_sub_f32_e32 v2, v40, v50
	v_sub_f32_e32 v3, v45, v51
	v_add_f32_e32 v8, v41, v10
	v_add_f32_e32 v9, v46, v17
	ds_write2_b64 v4, v[8:9], v[2:3] offset0:40 offset1:50
	v_sub_f32_e32 v2, v43, v38
	v_sub_f32_e32 v3, v48, v39
	;; [unrolled: 1-line block ×4, first 2 shown]
	ds_write2_b64 v4, v[2:3], v[8:9] offset0:60 offset1:70
	v_sub_f32_e32 v1, v1, v14
	v_sub_f32_e32 v0, v0, v13
	;; [unrolled: 1-line block ×4, first 2 shown]
	ds_write2_b64 v4, v[0:1], v[2:3] offset0:80 offset1:90
	v_add_u32_e32 v0, 0xffffff9c, v62
	v_cndmask_b32_e32 v15, v0, v62, vcc
	v_mul_i32_i24_e32 v3, 5, v15
	v_mov_b32_e32 v4, 0
	v_lshlrev_b64 v[0:1], 3, v[3:4]
	v_mov_b32_e32 v8, s13
	v_add_co_u32_e32 v28, vcc, s12, v0
	v_addc_co_u32_e32 v29, vcc, v8, v1, vcc
	s_waitcnt lgkmcnt(0)
	s_barrier
	global_load_dwordx4 v[0:3], v[28:29], off offset:736
	v_mov_b32_e32 v9, 41
	v_mul_lo_u16_sdwa v9, v5, v9 dst_sel:DWORD dst_unused:UNUSED_PAD src0_sel:BYTE_0 src1_sel:DWORD
	v_lshrrev_b16_e32 v13, 12, v9
	v_mul_lo_u16_e32 v9, 0x64, v13
	v_sub_u16_e32 v14, v5, v9
	v_mov_b32_e32 v5, 5
	v_mul_u32_u24_sdwa v5, v14, v5 dst_sel:DWORD dst_unused:UNUSED_PAD src0_sel:BYTE_0 src1_sel:DWORD
	v_lshlrev_b32_e32 v54, 3, v5
	global_load_dwordx4 v[16:19], v54, s[12:13] offset:736
	v_lshrrev_b16_e32 v5, 2, v6
	v_mul_u32_u24_e32 v5, 0x147b, v5
	v_lshrrev_b32_e32 v11, 17, v5
	v_mul_lo_u16_e32 v5, 0x64, v11
	v_sub_u16_e32 v12, v6, v5
	v_mul_u32_u24_e32 v5, 5, v12
	v_lshlrev_b32_e32 v40, 3, v5
	v_add_u16_e32 v5, 0x168, v62
	v_lshrrev_b16_e32 v6, 2, v5
	global_load_dwordx4 v[20:23], v40, s[12:13] offset:736
	v_mul_u32_u24_e32 v6, 0x147b, v6
	v_lshrrev_b32_e32 v9, 17, v6
	v_mul_lo_u16_e32 v6, 0x64, v9
	v_sub_u16_e32 v10, v5, v6
	v_mul_u32_u24_e32 v5, 5, v10
	v_lshlrev_b32_e32 v41, 3, v5
	global_load_dwordx4 v[24:27], v41, s[12:13] offset:736
	v_add_u16_e32 v6, 0x1e0, v62
	v_lshrrev_b16_e32 v5, 2, v6
	v_mul_u32_u24_e32 v5, 0x147b, v5
	v_lshrrev_b32_e32 v5, 17, v5
	v_mul_lo_u16_e32 v30, 0x64, v5
	v_sub_u16_e32 v6, v6, v30
	v_mul_u32_u24_e32 v30, 5, v6
	v_lshlrev_b32_e32 v34, 3, v30
	global_load_dwordx4 v[30:33], v34, s[12:13] offset:736
	global_load_dwordx2 v[58:59], v[28:29], off offset:752
	global_load_dwordx2 v[84:85], v54, s[12:13] offset:752
	global_load_dwordx2 v[86:87], v40, s[12:13] offset:752
	global_load_dwordx2 v[88:89], v41, s[12:13] offset:752
	global_load_dwordx2 v[90:91], v34, s[12:13] offset:752
	global_load_dwordx4 v[42:45], v34, s[12:13] offset:720
	ds_read2_b32 v[38:39], v70 offset0:16 offset1:17
	ds_read2_b64 v[34:37], v79 offset0:96 offset1:216
	global_load_dwordx4 v[46:49], v41, s[12:13] offset:720
	global_load_dwordx4 v[50:53], v[28:29], off offset:720
	ds_read2_b64 v[80:83], v67 offset0:64 offset1:184
	global_load_dwordx4 v[54:57], v54, s[12:13] offset:720
	v_cmp_lt_u32_e32 vcc, s7, v62
	v_lshlrev_b32_e32 v15, 3, v15
	v_mul_u32_u24_e32 v11, 0x12c0, v11
	v_lshlrev_b32_e32 v12, 3, v12
	s_movk_i32 s7, 0x2530
	s_waitcnt vmcnt(13) lgkmcnt(2)
	v_mul_f32_e32 v92, v39, v1
	v_mul_f32_e32 v1, v1, v38
	v_fmac_f32_e32 v92, v0, v38
	v_fma_f32 v93, v39, v0, -v1
	s_waitcnt lgkmcnt(1)
	v_mul_f32_e32 v94, v35, v3
	v_mul_f32_e32 v0, v34, v3
	v_fmac_f32_e32 v94, v34, v2
	v_fma_f32 v95, v35, v2, -v0
	global_load_dwordx4 v[0:3], v40, s[12:13] offset:720
	ds_read2_b64 v[38:41], v70 offset0:128 offset1:248
	s_waitcnt vmcnt(13)
	v_mul_f32_e32 v96, v37, v19
	v_mul_f32_e32 v19, v36, v19
	v_fmac_f32_e32 v96, v36, v18
	v_fma_f32 v97, v37, v18, -v19
	s_waitcnt lgkmcnt(0)
	v_mul_f32_e32 v98, v39, v17
	v_mul_f32_e32 v17, v38, v17
	v_fmac_f32_e32 v98, v38, v16
	v_fma_f32 v99, v39, v16, -v17
	ds_read2_b64 v[16:19], v73 offset0:80 offset1:200
	s_waitcnt vmcnt(12)
	v_mul_f32_e32 v35, v41, v21
	v_mul_f32_e32 v21, v40, v21
	v_fmac_f32_e32 v35, v40, v20
	v_fma_f32 v36, v41, v20, -v21
	s_waitcnt lgkmcnt(0)
	v_mul_f32_e32 v38, v17, v23
	v_fmac_f32_e32 v38, v16, v22
	v_mul_f32_e32 v16, v16, v23
	v_fma_f32 v39, v17, v22, -v16
	ds_read2_b64 v[20:23], v63 offset0:112 offset1:232
	s_waitcnt vmcnt(11)
	v_mul_f32_e32 v16, v18, v27
	v_mul_f32_e32 v28, v19, v27
	v_fma_f32 v29, v19, v26, -v16
	v_fmac_f32_e32 v28, v18, v26
	s_waitcnt lgkmcnt(0)
	v_mul_f32_e32 v16, v20, v25
	v_mul_f32_e32 v26, v21, v25
	v_fma_f32 v27, v21, v24, -v16
	s_waitcnt vmcnt(10)
	v_mul_f32_e32 v16, v23, v31
	v_mul_f32_e32 v17, v22, v31
	v_fmac_f32_e32 v26, v20, v24
	v_fmac_f32_e32 v16, v22, v30
	v_fma_f32 v17, v23, v30, -v17
	ds_read2_b64 v[20:23], v78 offset0:48 offset1:168
	s_waitcnt vmcnt(9)
	v_mul_f32_e32 v100, v83, v59
	v_mul_f32_e32 v24, v82, v59
	;; [unrolled: 1-line block ×4, first 2 shown]
	s_waitcnt vmcnt(8) lgkmcnt(0)
	v_mul_f32_e32 v59, v21, v85
	v_fmac_f32_e32 v59, v20, v84
	v_mul_f32_e32 v20, v20, v85
	s_waitcnt vmcnt(7)
	v_mul_f32_e32 v40, v23, v87
	v_fma_f32 v84, v21, v84, -v20
	v_fmac_f32_e32 v40, v22, v86
	v_mul_f32_e32 v20, v22, v87
	ds_read_b64 v[21:22], v66 offset:13440
	v_fmac_f32_e32 v18, v80, v32
	v_fma_f32 v19, v81, v32, -v19
	v_fmac_f32_e32 v100, v82, v58
	v_fma_f32 v58, v83, v58, -v24
	ds_read2_b64 v[80:83], v76 offset0:64 offset1:184
	s_waitcnt vmcnt(4) lgkmcnt(1)
	v_mul_f32_e32 v24, v22, v45
	ds_read2_b64 v[31:34], v72 offset0:32 offset1:152
	v_fmac_f32_e32 v24, v21, v44
	v_mul_f32_e32 v21, v21, v45
	v_fma_f32 v25, v22, v44, -v21
	s_waitcnt lgkmcnt(1)
	v_mul_f32_e32 v21, v83, v43
	v_mul_f32_e32 v22, v82, v43
	v_fmac_f32_e32 v21, v82, v42
	v_fma_f32 v22, v83, v42, -v22
	ds_read2_b64 v[42:45], v68 offset0:32 offset1:152
	v_fma_f32 v41, v23, v86, -v20
	s_waitcnt lgkmcnt(1)
	v_mul_f32_e32 v30, v32, v89
	v_mul_f32_e32 v20, v31, v89
	v_fmac_f32_e32 v30, v31, v88
	v_fma_f32 v31, v32, v88, -v20
	v_mul_f32_e32 v20, v34, v91
	v_mul_f32_e32 v23, v33, v91
	v_fmac_f32_e32 v20, v33, v90
	v_fma_f32 v23, v34, v90, -v23
	s_waitcnt vmcnt(3)
	v_mul_f32_e32 v32, v81, v47
	v_mul_f32_e32 v33, v80, v47
	s_waitcnt lgkmcnt(0)
	v_mul_f32_e32 v34, v45, v49
	v_mul_f32_e32 v37, v44, v49
	v_fmac_f32_e32 v32, v80, v46
	v_fma_f32 v33, v81, v46, -v33
	v_fmac_f32_e32 v34, v44, v48
	v_fma_f32 v37, v45, v48, -v37
	ds_read2_b64 v[44:47], v69 offset0:80 offset1:200
	v_sub_f32_e32 v87, v92, v100
	v_sub_f32_e32 v86, v93, v58
	s_waitcnt vmcnt(0)
	v_mul_f32_e32 v80, v43, v3
	v_mul_f32_e32 v3, v42, v3
	s_waitcnt lgkmcnt(0)
	v_mul_f32_e32 v82, v47, v1
	v_mul_f32_e32 v1, v46, v1
	v_fmac_f32_e32 v82, v46, v0
	v_fma_f32 v83, v47, v0, -v1
	ds_read2_b64 v[46:49], v71 offset0:48 offset1:168
	v_mul_f32_e32 v85, v45, v55
	v_mul_f32_e32 v0, v44, v55
	v_fmac_f32_e32 v85, v44, v54
	v_fma_f32 v54, v45, v54, -v0
	s_waitcnt lgkmcnt(0)
	v_mul_f32_e32 v55, v49, v57
	v_mul_f32_e32 v0, v48, v57
	v_fmac_f32_e32 v80, v42, v2
	v_fma_f32 v81, v43, v2, -v3
	v_fmac_f32_e32 v55, v48, v56
	v_fma_f32 v56, v49, v56, -v0
	ds_read2_b64 v[0:3], v74 offset0:96 offset1:216
	v_mul_f32_e32 v48, v53, v47
	v_mul_f32_e32 v42, v53, v46
	v_fmac_f32_e32 v48, v52, v46
	v_fma_f32 v46, v52, v47, -v42
	ds_read2_b64 v[42:45], v66 offset1:120
	s_waitcnt lgkmcnt(1)
	v_mul_f32_e32 v47, v51, v3
	v_fmac_f32_e32 v47, v50, v2
	v_mul_f32_e32 v2, v51, v2
	v_fma_f32 v2, v50, v3, -v2
	s_waitcnt lgkmcnt(0)
	v_add_f32_e32 v3, v43, v46
	v_add_f32_e32 v50, v3, v95
	v_sub_f32_e32 v51, v46, v95
	v_add_f32_e32 v3, v46, v95
	v_add_f32_e32 v46, v42, v48
	;; [unrolled: 1-line block ×5, first 2 shown]
	v_sub_f32_e32 v53, v48, v94
	v_add_f32_e32 v48, v47, v92
	v_fmac_f32_e32 v47, -0.5, v49
	v_add_f32_e32 v49, v2, v93
	v_add_f32_e32 v57, v49, v58
	;; [unrolled: 1-line block ×3, first 2 shown]
	v_fmac_f32_e32 v2, -0.5, v49
	v_mov_b32_e32 v89, v2
	v_fmac_f32_e32 v2, 0xbf5db3d7, v87
	v_mul_f32_e32 v90, 0xbf5db3d7, v2
	v_mul_f32_e32 v91, -0.5, v2
	v_mov_b32_e32 v2, 0x12c0
	v_mov_b32_e32 v88, v47
	v_fmac_f32_e32 v47, 0x3f5db3d7, v86
	v_cndmask_b32_e32 v2, 0, v2, vcc
	v_fma_f32 v92, -0.5, v46, v42
	v_fma_f32 v94, -0.5, v3, v43
	v_add_f32_e32 v58, v48, v100
	v_fmac_f32_e32 v90, -0.5, v47
	v_fmac_f32_e32 v91, 0x3f5db3d7, v47
	v_add3_u32 v15, 0, v2, v15
	v_mov_b32_e32 v93, v92
	v_fmac_f32_e32 v92, 0x3f5db3d7, v51
	v_mov_b32_e32 v95, v94
	v_fmac_f32_e32 v94, 0xbf5db3d7, v53
	v_add_f32_e32 v2, v92, v90
	v_add_f32_e32 v3, v94, v91
	v_sub_f32_e32 v42, v52, v58
	v_sub_f32_e32 v43, v50, v57
	v_add_u32_e32 v100, 0x400, v15
	v_fmac_f32_e32 v89, 0x3f5db3d7, v87
	ds_read2_b64 v[46:49], v77 offset0:112 offset1:232
	s_waitcnt lgkmcnt(0)
	s_barrier
	ds_write2_b64 v100, v[2:3], v[42:43] offset0:72 offset1:172
	v_add_f32_e32 v3, v50, v57
	v_fmac_f32_e32 v93, 0xbf5db3d7, v51
	v_fmac_f32_e32 v88, 0xbf5db3d7, v86
	v_mul_f32_e32 v50, 0xbf5db3d7, v89
	v_mul_f32_e32 v51, 0.5, v89
	v_fmac_f32_e32 v95, 0x3f5db3d7, v53
	v_fmac_f32_e32 v50, 0.5, v88
	v_fmac_f32_e32 v51, 0x3f5db3d7, v88
	v_add_f32_e32 v2, v52, v58
	v_add_f32_e32 v42, v93, v50
	;; [unrolled: 1-line block ×3, first 2 shown]
	ds_write2_b64 v15, v[2:3], v[42:43] offset1:100
	v_sub_f32_e32 v2, v93, v50
	v_sub_f32_e32 v3, v95, v51
	;; [unrolled: 1-line block ×4, first 2 shown]
	v_add_u32_e32 v15, 0x800, v15
	ds_write2_b64 v15, v[2:3], v[42:43] offset0:144 offset1:244
	v_add_f32_e32 v2, v45, v56
	v_add_f32_e32 v15, v2, v97
	;; [unrolled: 1-line block ×3, first 2 shown]
	v_fmac_f32_e32 v45, -0.5, v2
	v_add_f32_e32 v2, v44, v55
	v_add_f32_e32 v51, v98, v59
	;; [unrolled: 1-line block ×5, first 2 shown]
	v_sub_f32_e32 v50, v55, v96
	v_add_f32_e32 v3, v85, v98
	v_fmac_f32_e32 v85, -0.5, v51
	v_add_f32_e32 v51, v54, v99
	v_fmac_f32_e32 v54, -0.5, v53
	v_sub_f32_e32 v55, v98, v59
	v_sub_f32_e32 v52, v99, v84
	v_mov_b32_e32 v57, v54
	v_fmac_f32_e32 v54, 0xbf5db3d7, v55
	v_sub_f32_e32 v42, v56, v97
	v_add_f32_e32 v53, v3, v59
	v_mov_b32_e32 v56, v85
	v_fmac_f32_e32 v85, 0x3f5db3d7, v52
	v_mul_f32_e32 v58, 0xbf5db3d7, v54
	v_mul_f32_e32 v54, -0.5, v54
	v_lshlrev_b32_sdwa v3, v7, v14 dst_sel:DWORD dst_unused:UNUSED_PAD src0_sel:DWORD src1_sel:BYTE_0
	v_mul_u32_u24_e32 v7, 0x12c0, v13
	v_fma_f32 v44, -0.5, v2, v44
	v_add_f32_e32 v51, v51, v84
	v_fmac_f32_e32 v58, -0.5, v85
	v_fmac_f32_e32 v54, 0x3f5db3d7, v85
	v_add3_u32 v7, 0, v7, v3
	v_mov_b32_e32 v59, v44
	v_fmac_f32_e32 v44, 0x3f5db3d7, v42
	v_mov_b32_e32 v84, v45
	v_fmac_f32_e32 v45, 0xbf5db3d7, v50
	v_add_f32_e32 v2, v44, v58
	v_add_f32_e32 v3, v45, v54
	v_sub_f32_e32 v13, v43, v53
	v_sub_f32_e32 v14, v15, v51
	v_add_u32_e32 v85, 0x400, v7
	v_fmac_f32_e32 v57, 0x3f5db3d7, v55
	ds_write2_b64 v85, v[2:3], v[13:14] offset0:72 offset1:172
	v_add_f32_e32 v3, v15, v51
	v_fmac_f32_e32 v59, 0xbf5db3d7, v42
	v_fmac_f32_e32 v56, 0xbf5db3d7, v52
	v_mul_f32_e32 v15, 0xbf5db3d7, v57
	v_mul_f32_e32 v42, 0.5, v57
	v_fmac_f32_e32 v84, 0x3f5db3d7, v50
	v_fmac_f32_e32 v15, 0.5, v56
	v_fmac_f32_e32 v42, 0x3f5db3d7, v56
	v_add_f32_e32 v2, v43, v53
	v_add_f32_e32 v13, v59, v15
	;; [unrolled: 1-line block ×3, first 2 shown]
	ds_write2_b64 v7, v[2:3], v[13:14] offset1:100
	v_sub_f32_e32 v3, v45, v54
	v_sub_f32_e32 v2, v44, v58
	;; [unrolled: 1-line block ×4, first 2 shown]
	v_add_u32_e32 v7, 0x800, v7
	ds_write2_b64 v7, v[13:14], v[2:3] offset0:144 offset1:244
	v_add_f32_e32 v2, v47, v81
	v_add_f32_e32 v7, v2, v39
	v_sub_f32_e32 v13, v81, v39
	v_add_f32_e32 v2, v81, v39
	v_add_f32_e32 v3, v46, v80
	v_add_f32_e32 v39, v35, v40
	v_add_f32_e32 v14, v3, v38
	v_add_f32_e32 v3, v80, v38
	v_sub_f32_e32 v15, v80, v38
	v_add_f32_e32 v38, v82, v35
	v_fmac_f32_e32 v82, -0.5, v39
	v_add_f32_e32 v39, v83, v36
	v_sub_f32_e32 v42, v36, v41
	v_add_f32_e32 v36, v36, v41
	v_fmac_f32_e32 v83, -0.5, v36
	v_sub_f32_e32 v35, v35, v40
	v_add_f32_e32 v36, v38, v40
	v_mov_b32_e32 v40, v83
	v_fmac_f32_e32 v83, 0xbf5db3d7, v35
	v_add_f32_e32 v39, v39, v41
	v_mov_b32_e32 v38, v82
	v_fmac_f32_e32 v82, 0x3f5db3d7, v42
	v_mul_f32_e32 v41, 0xbf5db3d7, v83
	v_mul_f32_e32 v43, -0.5, v83
	v_fma_f32 v45, -0.5, v3, v46
	v_fma_f32 v47, -0.5, v2, v47
	v_fmac_f32_e32 v41, -0.5, v82
	v_fmac_f32_e32 v43, 0x3f5db3d7, v82
	v_add3_u32 v44, 0, v11, v12
	v_mov_b32_e32 v46, v45
	v_fmac_f32_e32 v45, 0x3f5db3d7, v13
	v_mov_b32_e32 v50, v47
	v_fmac_f32_e32 v47, 0xbf5db3d7, v15
	v_add_f32_e32 v2, v45, v41
	v_add_f32_e32 v3, v47, v43
	v_sub_f32_e32 v11, v14, v36
	v_sub_f32_e32 v12, v7, v39
	v_add_u32_e32 v51, 0x400, v44
	v_fmac_f32_e32 v40, 0x3f5db3d7, v35
	ds_write2_b64 v51, v[2:3], v[11:12] offset0:72 offset1:172
	v_add_f32_e32 v3, v7, v39
	v_fmac_f32_e32 v46, 0xbf5db3d7, v13
	v_fmac_f32_e32 v38, 0xbf5db3d7, v42
	v_mul_f32_e32 v7, 0xbf5db3d7, v40
	v_mul_f32_e32 v13, 0.5, v40
	v_fmac_f32_e32 v50, 0x3f5db3d7, v15
	v_fmac_f32_e32 v7, 0.5, v38
	v_fmac_f32_e32 v13, 0x3f5db3d7, v38
	v_add_f32_e32 v2, v14, v36
	v_add_f32_e32 v11, v46, v7
	v_add_f32_e32 v12, v50, v13
	ds_write2_b64 v44, v[2:3], v[11:12] offset1:100
	v_sub_f32_e32 v2, v46, v7
	v_sub_f32_e32 v3, v50, v13
	;; [unrolled: 1-line block ×4, first 2 shown]
	v_add_u32_e32 v7, 0x800, v44
	ds_write2_b64 v7, v[2:3], v[11:12] offset0:144 offset1:244
	v_add_f32_e32 v2, v49, v37
	v_add_f32_e32 v14, v26, v30
	;; [unrolled: 1-line block ×5, first 2 shown]
	v_fmac_f32_e32 v32, -0.5, v14
	v_add_f32_e32 v14, v33, v27
	v_sub_f32_e32 v15, v27, v31
	v_add_f32_e32 v27, v27, v31
	v_fmac_f32_e32 v49, -0.5, v2
	v_add_f32_e32 v2, v48, v34
	v_fmac_f32_e32 v33, -0.5, v27
	v_sub_f32_e32 v26, v26, v30
	v_sub_f32_e32 v11, v37, v29
	v_add_f32_e32 v12, v2, v28
	v_add_f32_e32 v2, v34, v28
	v_mov_b32_e32 v29, v33
	v_fmac_f32_e32 v33, 0xbf5db3d7, v26
	v_sub_f32_e32 v13, v34, v28
	v_add_f32_e32 v14, v14, v31
	v_add_f32_e32 v27, v3, v30
	v_mov_b32_e32 v28, v32
	v_fmac_f32_e32 v32, 0x3f5db3d7, v15
	v_mul_f32_e32 v30, 0xbf5db3d7, v33
	v_mul_f32_e32 v31, -0.5, v33
	v_mul_u32_u24_e32 v3, 0x12c0, v9
	v_lshlrev_b32_e32 v9, 3, v10
	v_fma_f32 v33, -0.5, v2, v48
	v_fmac_f32_e32 v30, -0.5, v32
	v_fmac_f32_e32 v31, 0x3f5db3d7, v32
	v_add3_u32 v32, 0, v3, v9
	v_mov_b32_e32 v34, v33
	v_fmac_f32_e32 v33, 0x3f5db3d7, v11
	v_mov_b32_e32 v35, v49
	v_fmac_f32_e32 v49, 0xbf5db3d7, v13
	v_add_f32_e32 v2, v33, v30
	v_add_f32_e32 v3, v49, v31
	v_sub_f32_e32 v9, v12, v27
	v_sub_f32_e32 v10, v7, v14
	v_add_u32_e32 v36, 0x400, v32
	v_fmac_f32_e32 v29, 0x3f5db3d7, v26
	ds_write2_b64 v36, v[2:3], v[9:10] offset0:72 offset1:172
	v_add_f32_e32 v3, v7, v14
	v_fmac_f32_e32 v34, 0xbf5db3d7, v11
	v_fmac_f32_e32 v28, 0xbf5db3d7, v15
	v_mul_f32_e32 v7, 0xbf5db3d7, v29
	v_mul_f32_e32 v11, 0.5, v29
	v_fmac_f32_e32 v35, 0x3f5db3d7, v13
	v_fmac_f32_e32 v7, 0.5, v28
	v_fmac_f32_e32 v11, 0x3f5db3d7, v28
	v_add_f32_e32 v2, v12, v27
	v_add_f32_e32 v9, v34, v7
	;; [unrolled: 1-line block ×3, first 2 shown]
	ds_write2_b64 v32, v[2:3], v[9:10] offset1:100
	v_sub_f32_e32 v3, v49, v31
	v_sub_f32_e32 v2, v33, v30
	;; [unrolled: 1-line block ×4, first 2 shown]
	v_add_u32_e32 v7, 0x800, v32
	ds_write2_b64 v7, v[9:10], v[2:3] offset0:144 offset1:244
	v_add_f32_e32 v2, v1, v25
	v_add_f32_e32 v7, v2, v19
	;; [unrolled: 1-line block ×5, first 2 shown]
	v_fmac_f32_e32 v1, -0.5, v2
	v_add_f32_e32 v2, v0, v24
	v_add_f32_e32 v3, v21, v16
	v_fmac_f32_e32 v21, -0.5, v12
	v_add_f32_e32 v12, v22, v17
	v_fmac_f32_e32 v22, -0.5, v14
	v_sub_f32_e32 v15, v16, v20
	v_add_f32_e32 v10, v2, v18
	v_add_f32_e32 v2, v24, v18
	v_sub_f32_e32 v13, v17, v23
	v_mov_b32_e32 v17, v22
	v_fmac_f32_e32 v22, 0xbf5db3d7, v15
	v_sub_f32_e32 v9, v25, v19
	v_sub_f32_e32 v11, v24, v18
	v_add_f32_e32 v14, v3, v20
	v_mov_b32_e32 v16, v21
	v_fmac_f32_e32 v21, 0x3f5db3d7, v13
	v_mul_f32_e32 v18, 0xbf5db3d7, v22
	v_mul_f32_e32 v19, -0.5, v22
	v_mul_u32_u24_e32 v3, 0x12c0, v5
	v_lshlrev_b32_e32 v5, 3, v6
	v_fma_f32 v0, -0.5, v2, v0
	v_add_f32_e32 v12, v12, v23
	v_fmac_f32_e32 v18, -0.5, v21
	v_fmac_f32_e32 v19, 0x3f5db3d7, v21
	v_add3_u32 v20, 0, v3, v5
	v_mov_b32_e32 v21, v0
	v_fmac_f32_e32 v0, 0x3f5db3d7, v9
	v_mov_b32_e32 v22, v1
	v_fmac_f32_e32 v1, 0xbf5db3d7, v11
	v_add_f32_e32 v2, v0, v18
	v_add_f32_e32 v3, v1, v19
	v_sub_f32_e32 v5, v10, v14
	v_sub_f32_e32 v6, v7, v12
	v_add_u32_e32 v23, 0x400, v20
	v_fmac_f32_e32 v17, 0x3f5db3d7, v15
	ds_write2_b64 v23, v[2:3], v[5:6] offset0:72 offset1:172
	v_add_f32_e32 v3, v7, v12
	v_fmac_f32_e32 v21, 0xbf5db3d7, v9
	v_fmac_f32_e32 v16, 0xbf5db3d7, v13
	v_mul_f32_e32 v7, 0xbf5db3d7, v17
	v_mul_f32_e32 v9, 0.5, v17
	v_fmac_f32_e32 v22, 0x3f5db3d7, v11
	v_fmac_f32_e32 v7, 0.5, v16
	v_fmac_f32_e32 v9, 0x3f5db3d7, v16
	v_add_f32_e32 v2, v10, v14
	v_add_f32_e32 v5, v21, v7
	;; [unrolled: 1-line block ×3, first 2 shown]
	ds_write2_b64 v20, v[2:3], v[5:6] offset1:100
	v_sub_f32_e32 v1, v1, v19
	v_sub_f32_e32 v0, v0, v18
	;; [unrolled: 1-line block ×4, first 2 shown]
	v_add_u32_e32 v5, 0x800, v20
	ds_write2_b64 v5, v[2:3], v[0:1] offset0:144 offset1:244
	v_mul_u32_u24_e32 v0, 5, v62
	v_lshlrev_b32_e32 v0, 3, v0
	v_add_co_u32_e32 v59, vcc, s12, v0
	v_addc_co_u32_e32 v80, vcc, 0, v8, vcc
	v_add_co_u32_e32 v5, vcc, s7, v59
	v_addc_co_u32_e32 v6, vcc, 0, v80, vcc
	s_waitcnt lgkmcnt(0)
	s_barrier
	global_load_dwordx2 v[9:10], v[5:6], off offset:32
	s_movk_i32 s7, 0x37f0
	v_add_co_u32_e32 v11, vcc, s7, v59
	v_addc_co_u32_e32 v12, vcc, 0, v80, vcc
	s_movk_i32 s7, 0x4ab0
	v_add_co_u32_e32 v15, vcc, s7, v59
	global_load_dwordx2 v[13:14], v[11:12], off offset:32
	v_addc_co_u32_e32 v16, vcc, 0, v80, vcc
	global_load_dwordx2 v[17:18], v[15:16], off offset:32
	v_add_u32_e32 v0, 0x4b00, v0
	v_add_co_u32_e32 v19, vcc, s12, v0
	s_movk_i32 s7, 0x1270
	v_addc_co_u32_e32 v22, vcc, 0, v8, vcc
	v_add_co_u32_e32 v7, vcc, s7, v19
	v_addc_co_u32_e32 v8, vcc, 0, v22, vcc
	v_add_co_u32_e32 v27, vcc, s7, v59
	v_addc_co_u32_e32 v28, vcc, 0, v80, vcc
	global_load_dwordx2 v[20:21], v[7:8], off offset:32
	global_load_dwordx2 v[29:30], v[27:28], off offset:32
	global_load_dwordx4 v[0:3], v[7:8], off offset:16
	global_load_dwordx4 v[23:26], v[15:16], off offset:16
	;; [unrolled: 1-line block ×5, first 2 shown]
	ds_read2_b64 v[5:8], v78 offset0:48 offset1:168
	v_add_co_u32_e32 v11, vcc, s4, v19
	v_addc_co_u32_e32 v12, vcc, 0, v22, vcc
	global_load_dwordx4 v[43:46], v[11:12], off offset:624
	v_add_co_u32_e32 v11, vcc, s5, v59
	v_addc_co_u32_e32 v12, vcc, 0, v80, vcc
	s_movk_i32 s5, 0x4000
	global_load_dwordx4 v[47:50], v[11:12], off offset:1328
	s_waitcnt vmcnt(11) lgkmcnt(0)
	v_mul_f32_e32 v84, v6, v10
	v_fmac_f32_e32 v84, v5, v9
	v_mul_f32_e32 v5, v5, v10
	v_add_co_u32_e32 v10, vcc, s5, v59
	v_addc_co_u32_e32 v11, vcc, 0, v80, vcc
	global_load_dwordx4 v[51:54], v[10:11], off offset:2736
	v_fma_f32 v85, v6, v9, -v5
	v_add_co_u32_e32 v5, vcc, s6, v59
	v_addc_co_u32_e32 v6, vcc, 0, v80, vcc
	global_load_dwordx4 v[55:58], v[5:6], off offset:2032
	ds_read2_b64 v[9:12], v72 offset0:32 offset1:152
	s_waitcnt vmcnt(12)
	v_mul_f32_e32 v19, v8, v14
	v_mul_f32_e32 v5, v7, v14
	v_fmac_f32_e32 v19, v7, v13
	v_fma_f32 v22, v8, v13, -v5
	s_waitcnt vmcnt(11) lgkmcnt(0)
	v_mul_f32_e32 v13, v10, v18
	v_add_co_u32_e32 v8, vcc, s4, v59
	v_fmac_f32_e32 v13, v9, v17
	v_mul_f32_e32 v5, v9, v18
	v_addc_co_u32_e32 v9, vcc, 0, v80, vcc
	global_load_dwordx4 v[80:83], v[8:9], off offset:624
	v_fma_f32 v14, v10, v17, -v5
	ds_read2_b64 v[15:18], v67 offset0:64 offset1:184
	s_waitcnt vmcnt(11)
	v_mul_f32_e32 v5, v12, v21
	v_mul_f32_e32 v6, v11, v21
	v_fmac_f32_e32 v5, v11, v20
	v_fma_f32 v6, v12, v20, -v6
	s_waitcnt vmcnt(10) lgkmcnt(0)
	v_mul_f32_e32 v86, v18, v30
	v_mul_f32_e32 v7, v17, v30
	v_fmac_f32_e32 v86, v17, v29
	v_fma_f32 v87, v18, v29, -v7
	ds_read2_b64 v[27:30], v63 offset0:112 offset1:232
	s_waitcnt vmcnt(9)
	v_mul_f32_e32 v7, v16, v3
	v_mul_f32_e32 v3, v15, v3
	v_fmac_f32_e32 v7, v15, v2
	v_fma_f32 v10, v16, v2, -v3
	s_waitcnt lgkmcnt(0)
	v_mul_f32_e32 v8, v30, v1
	v_mul_f32_e32 v1, v29, v1
	v_fmac_f32_e32 v8, v29, v0
	v_fma_f32 v9, v30, v0, -v1
	ds_read2_b64 v[0:3], v73 offset0:80 offset1:200
	s_waitcnt vmcnt(8)
	v_mul_f32_e32 v17, v28, v24
	v_mul_f32_e32 v11, v27, v24
	v_fmac_f32_e32 v17, v27, v23
	v_fma_f32 v18, v28, v23, -v11
	s_waitcnt lgkmcnt(0)
	v_mul_f32_e32 v20, v3, v26
	v_fmac_f32_e32 v20, v2, v25
	v_mul_f32_e32 v2, v2, v26
	v_fma_f32 v23, v3, v25, -v2
	ds_read2_b64 v[24:27], v70 offset0:128 offset1:248
	s_waitcnt vmcnt(7)
	v_mul_f32_e32 v29, v1, v34
	v_fmac_f32_e32 v29, v0, v33
	v_mul_f32_e32 v0, v0, v34
	v_fma_f32 v30, v1, v33, -v0
	s_waitcnt lgkmcnt(0)
	v_mul_f32_e32 v0, v26, v32
	v_fma_f32 v88, v27, v31, -v0
	ds_read2_b64 v[0:3], v79 offset0:96 offset1:216
	v_mul_f32_e32 v59, v27, v32
	s_waitcnt vmcnt(6)
	v_mul_f32_e32 v89, v25, v36
	v_mul_f32_e32 v11, v24, v36
	v_fmac_f32_e32 v59, v26, v31
	v_fmac_f32_e32 v89, v24, v35
	v_fma_f32 v90, v25, v35, -v11
	ds_read2_b64 v[24:27], v75 offset0:16 offset1:136
	s_waitcnt vmcnt(5) lgkmcnt(1)
	v_mul_f32_e32 v93, v1, v42
	v_mul_f32_e32 v91, v3, v38
	v_fmac_f32_e32 v93, v0, v41
	v_mul_f32_e32 v0, v0, v42
	v_fmac_f32_e32 v91, v2, v37
	v_mul_f32_e32 v2, v2, v38
	v_fma_f32 v94, v1, v41, -v0
	s_waitcnt lgkmcnt(0)
	v_mul_f32_e32 v0, v40, v26
	v_fma_f32 v92, v3, v37, -v2
	v_fma_f32 v96, v39, v27, -v0
	ds_read2_b64 v[0:3], v76 offset0:64 offset1:184
	ds_read2_b64 v[31:34], v68 offset0:32 offset1:152
	s_waitcnt vmcnt(4)
	v_mul_f32_e32 v11, v24, v46
	v_mul_f32_e32 v15, v25, v46
	v_fma_f32 v16, v25, v45, -v11
	v_mul_f32_e32 v95, v40, v27
	s_waitcnt lgkmcnt(1)
	v_mul_f32_e32 v11, v3, v44
	s_waitcnt vmcnt(2)
	v_mul_f32_e32 v25, v1, v52
	v_fmac_f32_e32 v25, v0, v51
	v_mul_f32_e32 v0, v0, v52
	v_fmac_f32_e32 v95, v39, v26
	v_fmac_f32_e32 v11, v2, v43
	v_mul_f32_e32 v2, v2, v44
	v_fma_f32 v26, v1, v51, -v0
	s_waitcnt lgkmcnt(0)
	v_mul_f32_e32 v0, v33, v54
	v_fma_f32 v12, v3, v43, -v2
	v_fma_f32 v28, v34, v53, -v0
	ds_read2_b64 v[0:3], v69 offset0:80 offset1:200
	v_mul_f32_e32 v27, v34, v54
	s_waitcnt vmcnt(1)
	v_mul_f32_e32 v43, v32, v58
	v_mul_f32_e32 v21, v31, v58
	v_fmac_f32_e32 v27, v33, v53
	v_fmac_f32_e32 v43, v31, v57
	v_fma_f32 v44, v32, v57, -v21
	ds_read2_b64 v[31:34], v71 offset0:48 offset1:168
	s_waitcnt lgkmcnt(1)
	v_mul_f32_e32 v51, v1, v48
	v_fmac_f32_e32 v15, v24, v45
	v_mul_f32_e32 v45, v3, v56
	v_fmac_f32_e32 v51, v0, v47
	;; [unrolled: 2-line block ×3, first 2 shown]
	v_mul_f32_e32 v2, v2, v56
	v_fma_f32 v47, v1, v47, -v0
	s_waitcnt lgkmcnt(0)
	v_mul_f32_e32 v48, v34, v50
	v_mul_f32_e32 v0, v33, v50
	s_waitcnt vmcnt(0)
	v_mul_f32_e32 v50, v83, v32
	v_mul_f32_e32 v21, v83, v31
	v_fma_f32 v46, v3, v55, -v2
	v_fmac_f32_e32 v48, v33, v49
	v_fma_f32 v49, v34, v49, -v0
	ds_read2_b64 v[0:3], v74 offset0:96 offset1:216
	v_fmac_f32_e32 v50, v82, v31
	v_fma_f32 v52, v82, v32, -v21
	ds_read2_b64 v[31:34], v66 offset1:120
	v_add_f32_e32 v83, v90, v85
	s_waitcnt lgkmcnt(1)
	v_mul_f32_e32 v53, v81, v3
	v_fmac_f32_e32 v53, v80, v2
	v_mul_f32_e32 v2, v81, v2
	s_waitcnt lgkmcnt(0)
	v_add_f32_e32 v35, v33, v48
	v_add_f32_e32 v55, v35, v91
	;; [unrolled: 1-line block ×3, first 2 shown]
	v_fma_f32 v54, v80, v3, -v2
	v_add_f32_e32 v56, v35, v92
	v_add_f32_e32 v35, v51, v89
	;; [unrolled: 1-line block ×17, first 2 shown]
	ds_read2_b64 v[35:38], v77 offset0:112 offset1:232
	s_waitcnt lgkmcnt(0)
	s_barrier
	ds_write2_b64 v66, v[39:40], v[41:42] offset1:120
	v_sub_f32_e32 v41, v52, v94
	v_add_f32_e32 v39, v52, v94
	v_add_f32_e32 v52, v96, v87
	;; [unrolled: 1-line block ×3, first 2 shown]
	v_sub_f32_e32 v42, v50, v93
	v_add_f32_e32 v50, v95, v86
	v_fmac_f32_e32 v54, -0.5, v52
	v_sub_f32_e32 v52, v95, v86
	v_fmac_f32_e32 v53, -0.5, v50
	v_sub_f32_e32 v50, v96, v87
	v_mov_b32_e32 v80, v54
	v_fmac_f32_e32 v54, 0xbf5db3d7, v52
	v_add_f32_e32 v82, v89, v84
	v_fmac_f32_e32 v47, -0.5, v83
	v_sub_f32_e32 v83, v89, v84
	v_mov_b32_e32 v66, v53
	v_fmac_f32_e32 v53, 0x3f5db3d7, v50
	v_mul_f32_e32 v81, 0xbf5db3d7, v54
	v_mul_f32_e32 v54, -0.5, v54
	v_fmac_f32_e32 v51, -0.5, v82
	v_sub_f32_e32 v82, v90, v85
	v_mov_b32_e32 v85, v47
	v_fmac_f32_e32 v47, 0xbf5db3d7, v83
	v_fmac_f32_e32 v81, -0.5, v53
	v_fmac_f32_e32 v54, 0x3f5db3d7, v53
	v_sub_f32_e32 v53, v49, v92
	v_add_f32_e32 v49, v49, v92
	v_mov_b32_e32 v84, v51
	v_fmac_f32_e32 v51, 0x3f5db3d7, v82
	v_mul_f32_e32 v86, 0xbf5db3d7, v47
	v_mul_f32_e32 v47, -0.5, v47
	v_fmac_f32_e32 v34, -0.5, v49
	v_add_f32_e32 v49, v48, v91
	v_fmac_f32_e32 v86, -0.5, v51
	v_fmac_f32_e32 v47, 0x3f5db3d7, v51
	v_fma_f32 v51, -0.5, v40, v31
	v_fma_f32 v89, -0.5, v39, v32
	v_sub_f32_e32 v48, v48, v91
	v_mov_b32_e32 v87, v51
	v_mov_b32_e32 v90, v89
	v_fma_f32 v33, -0.5, v49, v33
	v_mov_b32_e32 v91, v34
	v_fmac_f32_e32 v80, 0x3f5db3d7, v52
	v_fmac_f32_e32 v85, 0x3f5db3d7, v83
	;; [unrolled: 1-line block ×4, first 2 shown]
	v_mov_b32_e32 v49, v33
	v_fmac_f32_e32 v33, 0x3f5db3d7, v53
	v_fmac_f32_e32 v34, 0xbf5db3d7, v48
	;; [unrolled: 1-line block ×5, first 2 shown]
	v_mul_f32_e32 v41, 0xbf5db3d7, v80
	v_mul_f32_e32 v42, 0.5, v80
	v_fmac_f32_e32 v91, 0x3f5db3d7, v48
	v_fmac_f32_e32 v84, 0xbf5db3d7, v82
	v_mul_f32_e32 v48, 0xbf5db3d7, v85
	v_mul_f32_e32 v50, 0.5, v85
	v_add_f32_e32 v31, v51, v81
	v_add_f32_e32 v32, v89, v54
	;; [unrolled: 1-line block ×4, first 2 shown]
	v_fmac_f32_e32 v41, 0.5, v66
	v_fmac_f32_e32 v42, 0x3f5db3d7, v66
	v_fmac_f32_e32 v49, 0xbf5db3d7, v53
	v_fmac_f32_e32 v48, 0.5, v84
	v_fmac_f32_e32 v50, 0x3f5db3d7, v84
	ds_write2_b64 v71, v[31:32], v[39:40] offset0:48 offset1:168
	v_sub_f32_e32 v31, v87, v41
	v_sub_f32_e32 v32, v90, v42
	;; [unrolled: 1-line block ×4, first 2 shown]
	ds_write2_b64 v79, v[31:32], v[39:40] offset0:96 offset1:216
	v_add_f32_e32 v39, v59, v19
	v_add_f32_e32 v31, v49, v48
	v_add_f32_e32 v48, v45, v59
	v_fmac_f32_e32 v45, -0.5, v39
	v_add_f32_e32 v39, v88, v22
	v_add_f32_e32 v49, v46, v88
	v_fmac_f32_e32 v46, -0.5, v39
	v_sub_f32_e32 v52, v59, v19
	v_mov_b32_e32 v40, v46
	v_add_f32_e32 v32, v91, v50
	v_sub_f32_e32 v50, v88, v22
	v_mov_b32_e32 v39, v45
	v_fmac_f32_e32 v40, 0x3f5db3d7, v52
	v_fmac_f32_e32 v39, 0xbf5db3d7, v50
	v_mul_f32_e32 v53, 0xbf5db3d7, v40
	v_mul_f32_e32 v59, 0.5, v40
	v_fmac_f32_e32 v53, 0.5, v39
	v_fmac_f32_e32 v59, 0x3f5db3d7, v39
	v_add_f32_e32 v39, v43, v29
	v_fma_f32 v66, -0.5, v39, v35
	v_add_f32_e32 v39, v44, v30
	v_fma_f32 v80, -0.5, v39, v36
	v_sub_f32_e32 v71, v44, v30
	v_mov_b32_e32 v79, v66
	v_sub_f32_e32 v82, v43, v29
	v_mov_b32_e32 v83, v80
	v_add_f32_e32 v35, v35, v43
	v_fmac_f32_e32 v79, 0xbf5db3d7, v71
	v_fmac_f32_e32 v83, 0x3f5db3d7, v82
	v_add_f32_e32 v35, v35, v29
	v_add_f32_e32 v29, v36, v44
	;; [unrolled: 1-line block ×7, first 2 shown]
	ds_write2_b64 v69, v[31:32], v[39:40] offset0:80 offset1:200
	v_sub_f32_e32 v31, v55, v57
	v_sub_f32_e32 v32, v56, v58
	;; [unrolled: 1-line block ×4, first 2 shown]
	v_fmac_f32_e32 v46, 0xbf5db3d7, v52
	ds_write2_b64 v70, v[31:32], v[29:30] offset0:128 offset1:248
	v_sub_f32_e32 v30, v34, v47
	v_sub_f32_e32 v29, v33, v86
	v_fmac_f32_e32 v45, 0x3f5db3d7, v50
	v_mul_f32_e32 v33, 0xbf5db3d7, v46
	v_mul_f32_e32 v34, -0.5, v46
	v_fmac_f32_e32 v66, 0x3f5db3d7, v71
	v_fmac_f32_e32 v80, 0xbf5db3d7, v82
	v_fmac_f32_e32 v33, -0.5, v45
	v_fmac_f32_e32 v34, 0x3f5db3d7, v45
	v_sub_f32_e32 v31, v66, v33
	v_sub_f32_e32 v32, v80, v34
	ds_write2_b64 v78, v[29:30], v[31:32] offset0:48 offset1:168
	v_add_f32_e32 v31, v25, v17
	v_add_f32_e32 v29, v35, v19
	;; [unrolled: 1-line block ×12, first 2 shown]
	ds_write2_b64 v77, v[29:30], v[31:32] offset0:112 offset1:232
	v_sub_f32_e32 v31, v28, v23
	v_add_f32_e32 v23, v28, v23
	v_fmac_f32_e32 v38, -0.5, v23
	v_add_f32_e32 v23, v27, v20
	v_sub_f32_e32 v20, v27, v20
	v_add_f32_e32 v27, v17, v13
	v_fmac_f32_e32 v25, -0.5, v27
	v_sub_f32_e32 v27, v18, v14
	v_add_f32_e32 v14, v18, v14
	v_fmac_f32_e32 v26, -0.5, v14
	v_sub_f32_e32 v17, v17, v13
	v_mov_b32_e32 v28, v26
	v_fmac_f32_e32 v26, 0xbf5db3d7, v17
	v_add_f32_e32 v29, v66, v33
	v_mov_b32_e32 v18, v25
	v_fmac_f32_e32 v25, 0x3f5db3d7, v27
	v_mul_f32_e32 v32, 0xbf5db3d7, v26
	v_mul_f32_e32 v26, -0.5, v26
	v_fma_f32 v23, -0.5, v23, v37
	v_mov_b32_e32 v33, v38
	v_fmac_f32_e32 v28, 0x3f5db3d7, v17
	v_fmac_f32_e32 v32, -0.5, v25
	v_fmac_f32_e32 v26, 0x3f5db3d7, v25
	v_mov_b32_e32 v25, v23
	v_fmac_f32_e32 v23, 0x3f5db3d7, v31
	v_fmac_f32_e32 v38, 0xbf5db3d7, v20
	;; [unrolled: 1-line block ×4, first 2 shown]
	v_mul_f32_e32 v20, 0xbf5db3d7, v28
	v_mul_f32_e32 v27, 0.5, v28
	v_add_f32_e32 v30, v80, v34
	v_add_f32_e32 v13, v23, v32
	;; [unrolled: 1-line block ×3, first 2 shown]
	v_fmac_f32_e32 v25, 0xbf5db3d7, v31
	v_fmac_f32_e32 v20, 0.5, v18
	v_fmac_f32_e32 v27, 0x3f5db3d7, v18
	ds_write2_b64 v68, v[29:30], v[13:14] offset0:32 offset1:152
	v_sub_f32_e32 v13, v79, v53
	v_sub_f32_e32 v14, v83, v59
	;; [unrolled: 1-line block ×4, first 2 shown]
	ds_write2_b64 v73, v[13:14], v[17:18] offset0:80 offset1:200
	v_add_f32_e32 v17, v0, v15
	v_add_f32_e32 v28, v17, v7
	;; [unrolled: 1-line block ×12, first 2 shown]
	ds_write2_b64 v74, v[17:18], v[13:14] offset0:96 offset1:216
	v_sub_f32_e32 v17, v16, v10
	v_add_f32_e32 v10, v16, v10
	v_fmac_f32_e32 v1, -0.5, v10
	v_add_f32_e32 v10, v15, v7
	v_sub_f32_e32 v7, v15, v7
	v_add_f32_e32 v15, v8, v5
	v_fmac_f32_e32 v11, -0.5, v15
	v_sub_f32_e32 v15, v9, v6
	v_add_f32_e32 v6, v9, v6
	v_fmac_f32_e32 v12, -0.5, v6
	v_sub_f32_e32 v8, v8, v5
	v_mov_b32_e32 v6, v12
	v_mov_b32_e32 v5, v11
	v_fmac_f32_e32 v6, 0x3f5db3d7, v8
	v_fma_f32 v0, -0.5, v10, v0
	v_add_f32_e32 v13, v25, v20
	v_fmac_f32_e32 v5, 0xbf5db3d7, v15
	v_mul_f32_e32 v16, 0xbf5db3d7, v6
	v_mul_f32_e32 v18, 0.5, v6
	v_mov_b32_e32 v20, v0
	v_mov_b32_e32 v25, v1
	v_fmac_f32_e32 v16, 0.5, v5
	v_fmac_f32_e32 v18, 0x3f5db3d7, v5
	v_fmac_f32_e32 v20, 0xbf5db3d7, v17
	;; [unrolled: 1-line block ×3, first 2 shown]
	v_add_f32_e32 v14, v33, v27
	v_add_f32_e32 v5, v20, v16
	;; [unrolled: 1-line block ×3, first 2 shown]
	v_fmac_f32_e32 v12, 0xbf5db3d7, v8
	ds_write2_b64 v76, v[13:14], v[5:6] offset0:64 offset1:184
	v_fmac_f32_e32 v11, 0x3f5db3d7, v15
	v_mul_f32_e32 v5, -0.5, v12
	v_mul_f32_e32 v12, 0xbf5db3d7, v12
	v_fmac_f32_e32 v1, 0xbf5db3d7, v7
	v_fmac_f32_e32 v5, 0x3f5db3d7, v11
	;; [unrolled: 1-line block ×3, first 2 shown]
	v_fmac_f32_e32 v12, -0.5, v11
	v_add_f32_e32 v8, v1, v5
	v_sub_f32_e32 v2, v2, v21
	v_sub_f32_e32 v3, v3, v24
	v_add_f32_e32 v7, v0, v12
	v_sub_f32_e32 v6, v38, v26
	v_sub_f32_e32 v1, v1, v5
	;; [unrolled: 1-line block ×12, first 2 shown]
	ds_write2_b64 v75, v[7:8], v[2:3] offset0:16 offset1:136
	ds_write2_b64 v63, v[13:14], v[11:12] offset0:112 offset1:232
	;; [unrolled: 1-line block ×4, first 2 shown]
	s_waitcnt lgkmcnt(0)
	s_barrier
	s_and_saveexec_b64 s[4:5], s[0:1]
	s_cbranch_execz .LBB0_21
; %bb.20:
	v_mul_lo_u32 v2, s3, v64
	v_mul_lo_u32 v3, s2, v65
	v_mad_u64_u32 v[0:1], s[0:1], s2, v64, 0
	v_mov_b32_e32 v63, v4
	v_add3_u32 v1, v1, v3, v2
	v_lshlrev_b64 v[0:1], 3, v[0:1]
	v_mov_b32_e32 v3, s11
	v_add_co_u32_e32 v9, vcc, s10, v0
	v_addc_co_u32_e32 v3, vcc, v3, v1, vcc
	v_lshlrev_b64 v[0:1], 3, v[60:61]
	v_lshl_add_u32 v2, v62, 3, 0
	ds_read2_b64 v[5:8], v2 offset1:120
	v_add_co_u32_e32 v9, vcc, v9, v0
	v_addc_co_u32_e32 v10, vcc, v3, v1, vcc
	v_lshlrev_b64 v[0:1], 3, v[62:63]
	v_add_u32_e32 v3, 0x78, v62
	v_add_co_u32_e32 v0, vcc, v9, v0
	v_addc_co_u32_e32 v1, vcc, v10, v1, vcc
	s_waitcnt lgkmcnt(0)
	global_store_dwordx2 v[0:1], v[5:6], off
	v_lshlrev_b64 v[0:1], 3, v[3:4]
	v_add_u32_e32 v3, 0xf0, v62
	v_add_co_u32_e32 v0, vcc, v9, v0
	v_addc_co_u32_e32 v1, vcc, v10, v1, vcc
	global_store_dwordx2 v[0:1], v[7:8], off
	v_add_u32_e32 v0, 0x400, v2
	ds_read2_b64 v[5:8], v0 offset0:112 offset1:232
	v_lshlrev_b64 v[0:1], 3, v[3:4]
	v_add_u32_e32 v3, 0x168, v62
	v_add_co_u32_e32 v0, vcc, v9, v0
	v_addc_co_u32_e32 v1, vcc, v10, v1, vcc
	s_waitcnt lgkmcnt(0)
	global_store_dwordx2 v[0:1], v[5:6], off
	v_lshlrev_b64 v[0:1], 3, v[3:4]
	v_add_u32_e32 v3, 0x1e0, v62
	v_add_co_u32_e32 v0, vcc, v9, v0
	v_addc_co_u32_e32 v1, vcc, v10, v1, vcc
	global_store_dwordx2 v[0:1], v[7:8], off
	v_add_u32_e32 v0, 0xc00, v2
	ds_read2_b64 v[5:8], v0 offset0:96 offset1:216
	;; [unrolled: 13-line block ×14, first 2 shown]
	v_lshlrev_b64 v[0:1], 3, v[3:4]
	v_add_u32_e32 v3, 0xd98, v62
	v_add_co_u32_e32 v0, vcc, v9, v0
	v_addc_co_u32_e32 v1, vcc, v10, v1, vcc
	s_waitcnt lgkmcnt(0)
	global_store_dwordx2 v[0:1], v[5:6], off
	v_lshlrev_b64 v[0:1], 3, v[3:4]
	v_add_co_u32_e32 v0, vcc, v9, v0
	v_addc_co_u32_e32 v1, vcc, v10, v1, vcc
	global_store_dwordx2 v[0:1], v[7:8], off
.LBB0_21:
	s_endpgm
	.section	.rodata,"a",@progbits
	.p2align	6, 0x0
	.amdhsa_kernel fft_rtc_back_len3600_factors_10_10_6_6_wgs_120_tpt_120_halfLds_sp_op_CI_CI_unitstride_sbrr_C2R_dirReg
		.amdhsa_group_segment_fixed_size 0
		.amdhsa_private_segment_fixed_size 0
		.amdhsa_kernarg_size 104
		.amdhsa_user_sgpr_count 6
		.amdhsa_user_sgpr_private_segment_buffer 1
		.amdhsa_user_sgpr_dispatch_ptr 0
		.amdhsa_user_sgpr_queue_ptr 0
		.amdhsa_user_sgpr_kernarg_segment_ptr 1
		.amdhsa_user_sgpr_dispatch_id 0
		.amdhsa_user_sgpr_flat_scratch_init 0
		.amdhsa_user_sgpr_private_segment_size 0
		.amdhsa_uses_dynamic_stack 0
		.amdhsa_system_sgpr_private_segment_wavefront_offset 0
		.amdhsa_system_sgpr_workgroup_id_x 1
		.amdhsa_system_sgpr_workgroup_id_y 0
		.amdhsa_system_sgpr_workgroup_id_z 0
		.amdhsa_system_sgpr_workgroup_info 0
		.amdhsa_system_vgpr_workitem_id 0
		.amdhsa_next_free_vgpr 116
		.amdhsa_next_free_sgpr 28
		.amdhsa_reserve_vcc 1
		.amdhsa_reserve_flat_scratch 0
		.amdhsa_float_round_mode_32 0
		.amdhsa_float_round_mode_16_64 0
		.amdhsa_float_denorm_mode_32 3
		.amdhsa_float_denorm_mode_16_64 3
		.amdhsa_dx10_clamp 1
		.amdhsa_ieee_mode 1
		.amdhsa_fp16_overflow 0
		.amdhsa_exception_fp_ieee_invalid_op 0
		.amdhsa_exception_fp_denorm_src 0
		.amdhsa_exception_fp_ieee_div_zero 0
		.amdhsa_exception_fp_ieee_overflow 0
		.amdhsa_exception_fp_ieee_underflow 0
		.amdhsa_exception_fp_ieee_inexact 0
		.amdhsa_exception_int_div_zero 0
	.end_amdhsa_kernel
	.text
.Lfunc_end0:
	.size	fft_rtc_back_len3600_factors_10_10_6_6_wgs_120_tpt_120_halfLds_sp_op_CI_CI_unitstride_sbrr_C2R_dirReg, .Lfunc_end0-fft_rtc_back_len3600_factors_10_10_6_6_wgs_120_tpt_120_halfLds_sp_op_CI_CI_unitstride_sbrr_C2R_dirReg
                                        ; -- End function
	.section	.AMDGPU.csdata,"",@progbits
; Kernel info:
; codeLenInByte = 17484
; NumSgprs: 32
; NumVgprs: 116
; ScratchSize: 0
; MemoryBound: 0
; FloatMode: 240
; IeeeMode: 1
; LDSByteSize: 0 bytes/workgroup (compile time only)
; SGPRBlocks: 3
; VGPRBlocks: 28
; NumSGPRsForWavesPerEU: 32
; NumVGPRsForWavesPerEU: 116
; Occupancy: 2
; WaveLimiterHint : 1
; COMPUTE_PGM_RSRC2:SCRATCH_EN: 0
; COMPUTE_PGM_RSRC2:USER_SGPR: 6
; COMPUTE_PGM_RSRC2:TRAP_HANDLER: 0
; COMPUTE_PGM_RSRC2:TGID_X_EN: 1
; COMPUTE_PGM_RSRC2:TGID_Y_EN: 0
; COMPUTE_PGM_RSRC2:TGID_Z_EN: 0
; COMPUTE_PGM_RSRC2:TIDIG_COMP_CNT: 0
	.type	__hip_cuid_1c38050ae33a934c,@object ; @__hip_cuid_1c38050ae33a934c
	.section	.bss,"aw",@nobits
	.globl	__hip_cuid_1c38050ae33a934c
__hip_cuid_1c38050ae33a934c:
	.byte	0                               ; 0x0
	.size	__hip_cuid_1c38050ae33a934c, 1

	.ident	"AMD clang version 19.0.0git (https://github.com/RadeonOpenCompute/llvm-project roc-6.4.0 25133 c7fe45cf4b819c5991fe208aaa96edf142730f1d)"
	.section	".note.GNU-stack","",@progbits
	.addrsig
	.addrsig_sym __hip_cuid_1c38050ae33a934c
	.amdgpu_metadata
---
amdhsa.kernels:
  - .args:
      - .actual_access:  read_only
        .address_space:  global
        .offset:         0
        .size:           8
        .value_kind:     global_buffer
      - .offset:         8
        .size:           8
        .value_kind:     by_value
      - .actual_access:  read_only
        .address_space:  global
        .offset:         16
        .size:           8
        .value_kind:     global_buffer
      - .actual_access:  read_only
        .address_space:  global
        .offset:         24
        .size:           8
        .value_kind:     global_buffer
      - .actual_access:  read_only
        .address_space:  global
        .offset:         32
        .size:           8
        .value_kind:     global_buffer
      - .offset:         40
        .size:           8
        .value_kind:     by_value
      - .actual_access:  read_only
        .address_space:  global
        .offset:         48
        .size:           8
        .value_kind:     global_buffer
      - .actual_access:  read_only
        .address_space:  global
        .offset:         56
        .size:           8
        .value_kind:     global_buffer
      - .offset:         64
        .size:           4
        .value_kind:     by_value
      - .actual_access:  read_only
        .address_space:  global
        .offset:         72
        .size:           8
        .value_kind:     global_buffer
      - .actual_access:  read_only
        .address_space:  global
        .offset:         80
        .size:           8
        .value_kind:     global_buffer
      - .actual_access:  read_only
        .address_space:  global
        .offset:         88
        .size:           8
        .value_kind:     global_buffer
      - .actual_access:  write_only
        .address_space:  global
        .offset:         96
        .size:           8
        .value_kind:     global_buffer
    .group_segment_fixed_size: 0
    .kernarg_segment_align: 8
    .kernarg_segment_size: 104
    .language:       OpenCL C
    .language_version:
      - 2
      - 0
    .max_flat_workgroup_size: 120
    .name:           fft_rtc_back_len3600_factors_10_10_6_6_wgs_120_tpt_120_halfLds_sp_op_CI_CI_unitstride_sbrr_C2R_dirReg
    .private_segment_fixed_size: 0
    .sgpr_count:     32
    .sgpr_spill_count: 0
    .symbol:         fft_rtc_back_len3600_factors_10_10_6_6_wgs_120_tpt_120_halfLds_sp_op_CI_CI_unitstride_sbrr_C2R_dirReg.kd
    .uniform_work_group_size: 1
    .uses_dynamic_stack: false
    .vgpr_count:     116
    .vgpr_spill_count: 0
    .wavefront_size: 64
amdhsa.target:   amdgcn-amd-amdhsa--gfx906
amdhsa.version:
  - 1
  - 2
...

	.end_amdgpu_metadata
